;; amdgpu-corpus repo=ROCm/rocFFT kind=compiled arch=gfx1030 opt=O3
	.text
	.amdgcn_target "amdgcn-amd-amdhsa--gfx1030"
	.amdhsa_code_object_version 6
	.protected	fft_rtc_back_len2250_factors_10_3_5_3_5_wgs_90_tpt_90_halfLds_half_op_CI_CI_unitstride_sbrr_C2R_dirReg ; -- Begin function fft_rtc_back_len2250_factors_10_3_5_3_5_wgs_90_tpt_90_halfLds_half_op_CI_CI_unitstride_sbrr_C2R_dirReg
	.globl	fft_rtc_back_len2250_factors_10_3_5_3_5_wgs_90_tpt_90_halfLds_half_op_CI_CI_unitstride_sbrr_C2R_dirReg
	.p2align	8
	.type	fft_rtc_back_len2250_factors_10_3_5_3_5_wgs_90_tpt_90_halfLds_half_op_CI_CI_unitstride_sbrr_C2R_dirReg,@function
fft_rtc_back_len2250_factors_10_3_5_3_5_wgs_90_tpt_90_halfLds_half_op_CI_CI_unitstride_sbrr_C2R_dirReg: ; @fft_rtc_back_len2250_factors_10_3_5_3_5_wgs_90_tpt_90_halfLds_half_op_CI_CI_unitstride_sbrr_C2R_dirReg
; %bb.0:
	s_clause 0x2
	s_load_dwordx4 s[12:15], s[4:5], 0x0
	s_load_dwordx4 s[8:11], s[4:5], 0x58
	;; [unrolled: 1-line block ×3, first 2 shown]
	v_mul_u32_u24_e32 v1, 0x2d9, v0
	v_mov_b32_e32 v3, 0
	v_add_nc_u32_sdwa v5, s6, v1 dst_sel:DWORD dst_unused:UNUSED_PAD src0_sel:DWORD src1_sel:WORD_1
	v_mov_b32_e32 v1, 0
	v_mov_b32_e32 v6, v3
	v_mov_b32_e32 v2, 0
	s_waitcnt lgkmcnt(0)
	v_cmp_lt_u64_e64 s0, s[14:15], 2
	s_and_b32 vcc_lo, exec_lo, s0
	s_cbranch_vccnz .LBB0_8
; %bb.1:
	s_load_dwordx2 s[0:1], s[4:5], 0x10
	v_mov_b32_e32 v1, 0
	v_mov_b32_e32 v2, 0
	s_add_u32 s2, s18, 8
	s_addc_u32 s3, s19, 0
	s_add_u32 s6, s16, 8
	s_addc_u32 s7, s17, 0
	v_mov_b32_e32 v21, v2
	v_mov_b32_e32 v20, v1
	s_mov_b64 s[22:23], 1
	s_waitcnt lgkmcnt(0)
	s_add_u32 s20, s0, 8
	s_addc_u32 s21, s1, 0
.LBB0_2:                                ; =>This Inner Loop Header: Depth=1
	s_load_dwordx2 s[24:25], s[20:21], 0x0
                                        ; implicit-def: $vgpr24_vgpr25
	s_mov_b32 s0, exec_lo
	s_waitcnt lgkmcnt(0)
	v_or_b32_e32 v4, s25, v6
	v_cmpx_ne_u64_e32 0, v[3:4]
	s_xor_b32 s1, exec_lo, s0
	s_cbranch_execz .LBB0_4
; %bb.3:                                ;   in Loop: Header=BB0_2 Depth=1
	v_cvt_f32_u32_e32 v4, s24
	v_cvt_f32_u32_e32 v7, s25
	s_sub_u32 s0, 0, s24
	s_subb_u32 s26, 0, s25
	v_fmac_f32_e32 v4, 0x4f800000, v7
	v_rcp_f32_e32 v4, v4
	v_mul_f32_e32 v4, 0x5f7ffffc, v4
	v_mul_f32_e32 v7, 0x2f800000, v4
	v_trunc_f32_e32 v7, v7
	v_fmac_f32_e32 v4, 0xcf800000, v7
	v_cvt_u32_f32_e32 v7, v7
	v_cvt_u32_f32_e32 v4, v4
	v_mul_lo_u32 v8, s0, v7
	v_mul_hi_u32 v9, s0, v4
	v_mul_lo_u32 v10, s26, v4
	v_add_nc_u32_e32 v8, v9, v8
	v_mul_lo_u32 v9, s0, v4
	v_add_nc_u32_e32 v8, v8, v10
	v_mul_hi_u32 v10, v4, v9
	v_mul_lo_u32 v11, v4, v8
	v_mul_hi_u32 v12, v4, v8
	v_mul_hi_u32 v13, v7, v9
	v_mul_lo_u32 v9, v7, v9
	v_mul_hi_u32 v14, v7, v8
	v_mul_lo_u32 v8, v7, v8
	v_add_co_u32 v10, vcc_lo, v10, v11
	v_add_co_ci_u32_e32 v11, vcc_lo, 0, v12, vcc_lo
	v_add_co_u32 v9, vcc_lo, v10, v9
	v_add_co_ci_u32_e32 v9, vcc_lo, v11, v13, vcc_lo
	v_add_co_ci_u32_e32 v10, vcc_lo, 0, v14, vcc_lo
	v_add_co_u32 v8, vcc_lo, v9, v8
	v_add_co_ci_u32_e32 v9, vcc_lo, 0, v10, vcc_lo
	v_add_co_u32 v4, vcc_lo, v4, v8
	v_add_co_ci_u32_e32 v7, vcc_lo, v7, v9, vcc_lo
	v_mul_hi_u32 v8, s0, v4
	v_mul_lo_u32 v10, s26, v4
	v_mul_lo_u32 v9, s0, v7
	v_add_nc_u32_e32 v8, v8, v9
	v_mul_lo_u32 v9, s0, v4
	v_add_nc_u32_e32 v8, v8, v10
	v_mul_hi_u32 v10, v4, v9
	v_mul_lo_u32 v11, v4, v8
	v_mul_hi_u32 v12, v4, v8
	v_mul_hi_u32 v13, v7, v9
	v_mul_lo_u32 v9, v7, v9
	v_mul_hi_u32 v14, v7, v8
	v_mul_lo_u32 v8, v7, v8
	v_add_co_u32 v10, vcc_lo, v10, v11
	v_add_co_ci_u32_e32 v11, vcc_lo, 0, v12, vcc_lo
	v_add_co_u32 v9, vcc_lo, v10, v9
	v_add_co_ci_u32_e32 v9, vcc_lo, v11, v13, vcc_lo
	v_add_co_ci_u32_e32 v10, vcc_lo, 0, v14, vcc_lo
	v_add_co_u32 v8, vcc_lo, v9, v8
	v_add_co_ci_u32_e32 v9, vcc_lo, 0, v10, vcc_lo
	v_add_co_u32 v4, vcc_lo, v4, v8
	v_add_co_ci_u32_e32 v11, vcc_lo, v7, v9, vcc_lo
	v_mul_hi_u32 v13, v5, v4
	v_mad_u64_u32 v[9:10], null, v6, v4, 0
	v_mad_u64_u32 v[7:8], null, v5, v11, 0
	;; [unrolled: 1-line block ×3, first 2 shown]
	v_add_co_u32 v4, vcc_lo, v13, v7
	v_add_co_ci_u32_e32 v7, vcc_lo, 0, v8, vcc_lo
	v_add_co_u32 v4, vcc_lo, v4, v9
	v_add_co_ci_u32_e32 v4, vcc_lo, v7, v10, vcc_lo
	v_add_co_ci_u32_e32 v7, vcc_lo, 0, v12, vcc_lo
	v_add_co_u32 v4, vcc_lo, v4, v11
	v_add_co_ci_u32_e32 v9, vcc_lo, 0, v7, vcc_lo
	v_mul_lo_u32 v10, s25, v4
	v_mad_u64_u32 v[7:8], null, s24, v4, 0
	v_mul_lo_u32 v11, s24, v9
	v_sub_co_u32 v7, vcc_lo, v5, v7
	v_add3_u32 v8, v8, v11, v10
	v_sub_nc_u32_e32 v10, v6, v8
	v_subrev_co_ci_u32_e64 v10, s0, s25, v10, vcc_lo
	v_add_co_u32 v11, s0, v4, 2
	v_add_co_ci_u32_e64 v12, s0, 0, v9, s0
	v_sub_co_u32 v13, s0, v7, s24
	v_sub_co_ci_u32_e32 v8, vcc_lo, v6, v8, vcc_lo
	v_subrev_co_ci_u32_e64 v10, s0, 0, v10, s0
	v_cmp_le_u32_e32 vcc_lo, s24, v13
	v_cmp_eq_u32_e64 s0, s25, v8
	v_cndmask_b32_e64 v13, 0, -1, vcc_lo
	v_cmp_le_u32_e32 vcc_lo, s25, v10
	v_cndmask_b32_e64 v14, 0, -1, vcc_lo
	v_cmp_le_u32_e32 vcc_lo, s24, v7
	;; [unrolled: 2-line block ×3, first 2 shown]
	v_cndmask_b32_e64 v15, 0, -1, vcc_lo
	v_cmp_eq_u32_e32 vcc_lo, s25, v10
	v_cndmask_b32_e64 v7, v15, v7, s0
	v_cndmask_b32_e32 v10, v14, v13, vcc_lo
	v_add_co_u32 v13, vcc_lo, v4, 1
	v_add_co_ci_u32_e32 v14, vcc_lo, 0, v9, vcc_lo
	v_cmp_ne_u32_e32 vcc_lo, 0, v10
	v_cndmask_b32_e32 v8, v14, v12, vcc_lo
	v_cndmask_b32_e32 v10, v13, v11, vcc_lo
	v_cmp_ne_u32_e32 vcc_lo, 0, v7
	v_cndmask_b32_e32 v25, v9, v8, vcc_lo
	v_cndmask_b32_e32 v24, v4, v10, vcc_lo
.LBB0_4:                                ;   in Loop: Header=BB0_2 Depth=1
	s_andn2_saveexec_b32 s0, s1
	s_cbranch_execz .LBB0_6
; %bb.5:                                ;   in Loop: Header=BB0_2 Depth=1
	v_cvt_f32_u32_e32 v4, s24
	s_sub_i32 s1, 0, s24
	v_mov_b32_e32 v25, v3
	v_rcp_iflag_f32_e32 v4, v4
	v_mul_f32_e32 v4, 0x4f7ffffe, v4
	v_cvt_u32_f32_e32 v4, v4
	v_mul_lo_u32 v7, s1, v4
	v_mul_hi_u32 v7, v4, v7
	v_add_nc_u32_e32 v4, v4, v7
	v_mul_hi_u32 v4, v5, v4
	v_mul_lo_u32 v7, v4, s24
	v_add_nc_u32_e32 v8, 1, v4
	v_sub_nc_u32_e32 v7, v5, v7
	v_subrev_nc_u32_e32 v9, s24, v7
	v_cmp_le_u32_e32 vcc_lo, s24, v7
	v_cndmask_b32_e32 v7, v7, v9, vcc_lo
	v_cndmask_b32_e32 v4, v4, v8, vcc_lo
	v_cmp_le_u32_e32 vcc_lo, s24, v7
	v_add_nc_u32_e32 v8, 1, v4
	v_cndmask_b32_e32 v24, v4, v8, vcc_lo
.LBB0_6:                                ;   in Loop: Header=BB0_2 Depth=1
	s_or_b32 exec_lo, exec_lo, s0
	v_mul_lo_u32 v4, v25, s24
	v_mul_lo_u32 v9, v24, s25
	s_load_dwordx2 s[0:1], s[6:7], 0x0
	v_mad_u64_u32 v[7:8], null, v24, s24, 0
	s_load_dwordx2 s[24:25], s[2:3], 0x0
	s_add_u32 s22, s22, 1
	s_addc_u32 s23, s23, 0
	s_add_u32 s2, s2, 8
	s_addc_u32 s3, s3, 0
	s_add_u32 s6, s6, 8
	v_add3_u32 v4, v8, v9, v4
	v_sub_co_u32 v5, vcc_lo, v5, v7
	s_addc_u32 s7, s7, 0
	s_add_u32 s20, s20, 8
	v_sub_co_ci_u32_e32 v4, vcc_lo, v6, v4, vcc_lo
	s_addc_u32 s21, s21, 0
	s_waitcnt lgkmcnt(0)
	v_mul_lo_u32 v6, s0, v4
	v_mul_lo_u32 v7, s1, v5
	v_mad_u64_u32 v[1:2], null, s0, v5, v[1:2]
	v_mul_lo_u32 v4, s24, v4
	v_mul_lo_u32 v8, s25, v5
	v_mad_u64_u32 v[20:21], null, s24, v5, v[20:21]
	v_cmp_ge_u64_e64 s0, s[22:23], s[14:15]
	v_add3_u32 v2, v7, v2, v6
	v_add3_u32 v21, v8, v21, v4
	s_and_b32 vcc_lo, exec_lo, s0
	s_cbranch_vccnz .LBB0_9
; %bb.7:                                ;   in Loop: Header=BB0_2 Depth=1
	v_mov_b32_e32 v5, v24
	v_mov_b32_e32 v6, v25
	s_branch .LBB0_2
.LBB0_8:
	v_mov_b32_e32 v21, v2
	v_mov_b32_e32 v25, v6
	;; [unrolled: 1-line block ×4, first 2 shown]
.LBB0_9:
	s_load_dwordx2 s[0:1], s[4:5], 0x28
	v_mul_hi_u32 v3, 0x2d82d83, v0
	s_lshl_b64 s[4:5], s[14:15], 3
                                        ; implicit-def: $vgpr22
	s_add_u32 s2, s18, s4
	s_addc_u32 s3, s19, s5
	s_waitcnt lgkmcnt(0)
	v_cmp_gt_u64_e32 vcc_lo, s[0:1], v[24:25]
	v_cmp_le_u64_e64 s0, s[0:1], v[24:25]
	s_and_saveexec_b32 s1, s0
	s_xor_b32 s0, exec_lo, s1
; %bb.10:
	v_mul_u32_u24_e32 v1, 0x5a, v3
                                        ; implicit-def: $vgpr3
	v_sub_nc_u32_e32 v22, v0, v1
                                        ; implicit-def: $vgpr0
                                        ; implicit-def: $vgpr1_vgpr2
; %bb.11:
	s_or_saveexec_b32 s1, s0
	s_load_dwordx2 s[2:3], s[2:3], 0x0
	s_xor_b32 exec_lo, exec_lo, s1
	s_cbranch_execz .LBB0_15
; %bb.12:
	s_add_u32 s4, s16, s4
	s_addc_u32 s5, s17, s5
	v_lshlrev_b64 v[1:2], 2, v[1:2]
	s_load_dwordx2 s[4:5], s[4:5], 0x0
	s_waitcnt lgkmcnt(0)
	v_mul_lo_u32 v6, s5, v24
	v_mul_lo_u32 v7, s4, v25
	v_mad_u64_u32 v[4:5], null, s4, v24, 0
	v_add3_u32 v5, v5, v7, v6
	v_mul_u32_u24_e32 v6, 0x5a, v3
	v_lshlrev_b64 v[3:4], 2, v[4:5]
	v_sub_nc_u32_e32 v22, v0, v6
	v_lshlrev_b32_e32 v12, 2, v22
	v_add_co_u32 v0, s0, s8, v3
	v_add_co_ci_u32_e64 v3, s0, s9, v4, s0
	v_add_co_u32 v0, s0, v0, v1
	v_add_co_ci_u32_e64 v1, s0, v3, v2, s0
	;; [unrolled: 2-line block ×7, first 2 shown]
	s_clause 0x18
	global_load_dword v13, v[2:3], off
	global_load_dword v14, v[2:3], off offset:360
	global_load_dword v15, v[2:3], off offset:720
	global_load_dword v16, v[2:3], off offset:1080
	global_load_dword v17, v[2:3], off offset:1440
	global_load_dword v2, v[2:3], off offset:1800
	global_load_dword v3, v[4:5], off offset:112
	global_load_dword v18, v[4:5], off offset:472
	global_load_dword v19, v[4:5], off offset:832
	global_load_dword v23, v[4:5], off offset:1192
	global_load_dword v26, v[4:5], off offset:1552
	global_load_dword v4, v[4:5], off offset:1912
	global_load_dword v5, v[6:7], off offset:224
	global_load_dword v27, v[6:7], off offset:584
	global_load_dword v28, v[6:7], off offset:944
	global_load_dword v29, v[6:7], off offset:1304
	global_load_dword v30, v[6:7], off offset:1664
	global_load_dword v6, v[6:7], off offset:2024
	global_load_dword v7, v[8:9], off offset:336
	global_load_dword v31, v[8:9], off offset:696
	global_load_dword v32, v[8:9], off offset:1056
	global_load_dword v33, v[8:9], off offset:1416
	global_load_dword v8, v[8:9], off offset:1776
	global_load_dword v9, v[10:11], off offset:88
	global_load_dword v10, v[10:11], off offset:448
	v_add_nc_u32_e32 v11, 0, v12
	v_cmp_eq_u32_e64 s0, 0x59, v22
	v_add_nc_u32_e32 v12, 0x200, v11
	v_add_nc_u32_e32 v34, 0x400, v11
	;; [unrolled: 1-line block ×11, first 2 shown]
	s_waitcnt vmcnt(23)
	ds_write2_b32 v11, v13, v14 offset1:90
	s_waitcnt vmcnt(21)
	ds_write2_b32 v12, v15, v16 offset0:52 offset1:142
	s_waitcnt vmcnt(19)
	ds_write2_b32 v34, v17, v2 offset0:104 offset1:194
	;; [unrolled: 2-line block ×11, first 2 shown]
	s_waitcnt vmcnt(0)
	ds_write_b32 v11, v10 offset:8640
	s_and_saveexec_b32 s4, s0
	s_cbranch_execz .LBB0_14
; %bb.13:
	v_add_co_u32 v0, s0, 0x2000, v0
	v_add_co_ci_u32_e64 v1, s0, 0, v1, s0
	v_mov_b32_e32 v22, 0x59
	global_load_dword v0, v[0:1], off offset:808
	v_mov_b32_e32 v1, 0
	s_waitcnt vmcnt(0)
	ds_write_b32 v1, v0 offset:9000
.LBB0_14:
	s_or_b32 exec_lo, exec_lo, s4
.LBB0_15:
	s_or_b32 exec_lo, exec_lo, s1
	v_lshlrev_b32_e32 v26, 2, v22
	s_waitcnt lgkmcnt(0)
	s_barrier
	buffer_gl0_inv
	s_add_u32 s1, s12, 0x2300
	v_add_nc_u32_e32 v51, 0, v26
	v_sub_nc_u32_e32 v2, 0, v26
	s_addc_u32 s4, s13, 0
	s_mov_b32 s5, exec_lo
                                        ; implicit-def: $vgpr0_vgpr1
	ds_read_u16 v5, v51
	ds_read_u16 v6, v2 offset:9000
	s_waitcnt lgkmcnt(0)
	v_add_f16_e32 v4, v6, v5
	v_sub_f16_e32 v3, v5, v6
	v_cmpx_ne_u32_e32 0, v22
	s_xor_b32 s5, exec_lo, s5
	s_cbranch_execz .LBB0_17
; %bb.16:
	v_mov_b32_e32 v23, 0
	v_add_f16_e32 v4, v6, v5
	v_sub_f16_e32 v5, v5, v6
	v_lshlrev_b64 v[0:1], 2, v[22:23]
	v_add_co_u32 v0, s0, s1, v0
	v_add_co_ci_u32_e64 v1, s0, s4, v1, s0
	global_load_dword v0, v[0:1], off
	ds_read_u16 v1, v2 offset:9002
	ds_read_u16 v3, v51 offset:2
	s_waitcnt lgkmcnt(0)
	v_add_f16_e32 v6, v1, v3
	v_sub_f16_e32 v1, v3, v1
	s_waitcnt vmcnt(0)
	v_lshrrev_b32_e32 v7, 16, v0
	v_fma_f16 v8, -v5, v7, v4
	v_fma_f16 v9, v6, v7, -v1
	v_fma_f16 v3, v6, v7, v1
	v_fma_f16 v4, v5, v7, v4
	v_fmac_f16_e32 v8, v0, v6
	v_fmac_f16_e32 v9, v5, v0
	;; [unrolled: 1-line block ×3, first 2 shown]
	v_fma_f16 v4, -v0, v6, v4
	v_mov_b32_e32 v0, v22
	v_mov_b32_e32 v1, v23
	v_pack_b32_f16 v5, v8, v9
	ds_write_b32 v2, v5 offset:9000
.LBB0_17:
	s_andn2_saveexec_b32 s0, s5
	s_cbranch_execz .LBB0_19
; %bb.18:
	v_mov_b32_e32 v5, 0
	ds_read_b32 v0, v5 offset:4500
	s_waitcnt lgkmcnt(0)
	v_pk_mul_f16 v6, 0xc0004000, v0
	v_mov_b32_e32 v0, 0
	v_mov_b32_e32 v1, 0
	ds_write_b32 v5, v6 offset:4500
.LBB0_19:
	s_or_b32 exec_lo, exec_lo, s0
	v_lshlrev_b64 v[0:1], 2, v[0:1]
	v_perm_b32 v3, v3, v4, 0x5040100
	v_add_co_u32 v0, s0, s1, v0
	v_add_co_ci_u32_e64 v1, s0, s4, v1, s0
	s_clause 0x4
	global_load_dword v7, v[0:1], off offset:360
	global_load_dword v8, v[0:1], off offset:720
	global_load_dword v9, v[0:1], off offset:1080
	global_load_dword v10, v[0:1], off offset:1440
	global_load_dword v11, v[0:1], off offset:1800
	v_add_co_u32 v5, s0, 0x800, v0
	v_add_co_ci_u32_e64 v6, s0, 0, v1, s0
	s_clause 0x1
	global_load_dword v12, v[5:6], off offset:112
	global_load_dword v13, v[5:6], off offset:472
	ds_write_b32 v51, v3
	ds_read_b32 v3, v51 offset:360
	ds_read_b32 v4, v2 offset:8640
	global_load_dword v14, v[5:6], off offset:832
	v_cmp_gt_u32_e64 s0, 45, v22
	s_waitcnt lgkmcnt(0)
	v_add_f16_e32 v15, v3, v4
	v_add_f16_sdwa v16, v4, v3 dst_sel:DWORD dst_unused:UNUSED_PAD src0_sel:WORD_1 src1_sel:WORD_1
	v_sub_f16_e32 v17, v3, v4
	v_sub_f16_sdwa v3, v3, v4 dst_sel:DWORD dst_unused:UNUSED_PAD src0_sel:WORD_1 src1_sel:WORD_1
	s_waitcnt vmcnt(7)
	v_lshrrev_b32_e32 v18, 16, v7
	v_fma_f16 v4, v17, v18, v15
	v_fma_f16 v19, v16, v18, v3
	v_fma_f16 v15, -v17, v18, v15
	v_fma_f16 v3, v16, v18, -v3
	v_fma_f16 v4, -v7, v16, v4
	v_fmac_f16_e32 v19, v17, v7
	v_fmac_f16_e32 v15, v7, v16
	;; [unrolled: 1-line block ×3, first 2 shown]
	s_waitcnt vmcnt(6)
	v_lshrrev_b32_e32 v7, 16, v8
	v_pack_b32_f16 v4, v4, v19
	v_pack_b32_f16 v3, v15, v3
	ds_write_b32 v51, v4 offset:360
	ds_write_b32 v2, v3 offset:8640
	ds_read_b32 v3, v51 offset:720
	ds_read_b32 v4, v2 offset:8280
	s_waitcnt lgkmcnt(0)
	v_add_f16_e32 v15, v3, v4
	v_add_f16_sdwa v16, v4, v3 dst_sel:DWORD dst_unused:UNUSED_PAD src0_sel:WORD_1 src1_sel:WORD_1
	v_sub_f16_e32 v17, v3, v4
	v_sub_f16_sdwa v3, v3, v4 dst_sel:DWORD dst_unused:UNUSED_PAD src0_sel:WORD_1 src1_sel:WORD_1
	global_load_dword v4, v[5:6], off offset:1192
	v_fma_f16 v18, v17, v7, v15
	v_fma_f16 v19, v16, v7, v3
	v_fma_f16 v15, -v17, v7, v15
	v_fma_f16 v3, v16, v7, -v3
	v_fma_f16 v7, -v8, v16, v18
	v_fmac_f16_e32 v19, v17, v8
	v_fmac_f16_e32 v15, v8, v16
	;; [unrolled: 1-line block ×3, first 2 shown]
	s_waitcnt vmcnt(6)
	v_lshrrev_b32_e32 v8, 16, v9
	v_pack_b32_f16 v7, v7, v19
	v_pack_b32_f16 v3, v15, v3
	ds_write_b32 v51, v7 offset:720
	ds_write_b32 v2, v3 offset:8280
	ds_read_b32 v3, v51 offset:1080
	ds_read_b32 v7, v2 offset:7920
	s_waitcnt lgkmcnt(0)
	v_add_f16_e32 v15, v3, v7
	v_add_f16_sdwa v16, v7, v3 dst_sel:DWORD dst_unused:UNUSED_PAD src0_sel:WORD_1 src1_sel:WORD_1
	v_sub_f16_e32 v17, v3, v7
	v_sub_f16_sdwa v3, v3, v7 dst_sel:DWORD dst_unused:UNUSED_PAD src0_sel:WORD_1 src1_sel:WORD_1
	global_load_dword v7, v[5:6], off offset:1552
	v_fma_f16 v18, v17, v8, v15
	v_fma_f16 v19, v16, v8, v3
	v_fma_f16 v15, -v17, v8, v15
	v_fma_f16 v3, v16, v8, -v3
	v_fma_f16 v8, -v9, v16, v18
	v_fmac_f16_e32 v19, v17, v9
	v_fmac_f16_e32 v15, v9, v16
	;; [unrolled: 1-line block ×3, first 2 shown]
	s_waitcnt vmcnt(6)
	v_lshrrev_b32_e32 v9, 16, v10
	v_pack_b32_f16 v8, v8, v19
	v_pack_b32_f16 v3, v15, v3
	ds_write_b32 v51, v8 offset:1080
	ds_write_b32 v2, v3 offset:7920
	ds_read_b32 v3, v51 offset:1440
	ds_read_b32 v8, v2 offset:7560
	global_load_dword v5, v[5:6], off offset:1912
	s_waitcnt lgkmcnt(0)
	v_add_f16_e32 v15, v3, v8
	v_add_f16_sdwa v16, v8, v3 dst_sel:DWORD dst_unused:UNUSED_PAD src0_sel:WORD_1 src1_sel:WORD_1
	v_sub_f16_e32 v17, v3, v8
	v_sub_f16_sdwa v3, v3, v8 dst_sel:DWORD dst_unused:UNUSED_PAD src0_sel:WORD_1 src1_sel:WORD_1
	v_fma_f16 v6, v17, v9, v15
	v_fma_f16 v8, v16, v9, v3
	v_fma_f16 v15, -v17, v9, v15
	v_fma_f16 v3, v16, v9, -v3
	v_fma_f16 v6, -v10, v16, v6
	v_fmac_f16_e32 v8, v17, v10
	v_fmac_f16_e32 v15, v10, v16
	;; [unrolled: 1-line block ×3, first 2 shown]
	v_pack_b32_f16 v6, v6, v8
	s_waitcnt vmcnt(6)
	v_lshrrev_b32_e32 v8, 16, v11
	v_pack_b32_f16 v3, v15, v3
	ds_write_b32 v51, v6 offset:1440
	ds_write_b32 v2, v3 offset:7560
	ds_read_b32 v3, v51 offset:1800
	ds_read_b32 v6, v2 offset:7200
	s_waitcnt lgkmcnt(0)
	v_add_f16_e32 v9, v3, v6
	v_add_f16_sdwa v10, v6, v3 dst_sel:DWORD dst_unused:UNUSED_PAD src0_sel:WORD_1 src1_sel:WORD_1
	v_sub_f16_e32 v15, v3, v6
	v_sub_f16_sdwa v3, v3, v6 dst_sel:DWORD dst_unused:UNUSED_PAD src0_sel:WORD_1 src1_sel:WORD_1
	v_fma_f16 v6, v15, v8, v9
	v_fma_f16 v16, v10, v8, v3
	v_fma_f16 v9, -v15, v8, v9
	v_fma_f16 v3, v10, v8, -v3
	s_waitcnt vmcnt(5)
	v_lshrrev_b32_e32 v8, 16, v12
	v_fma_f16 v6, -v11, v10, v6
	v_fmac_f16_e32 v16, v15, v11
	v_fmac_f16_e32 v9, v11, v10
	v_fmac_f16_e32 v3, v15, v11
	v_pack_b32_f16 v6, v6, v16
	v_pack_b32_f16 v3, v9, v3
	ds_write_b32 v51, v6 offset:1800
	ds_write_b32 v2, v3 offset:7200
	ds_read_b32 v3, v51 offset:2160
	ds_read_b32 v6, v2 offset:6840
	s_waitcnt lgkmcnt(0)
	v_add_f16_e32 v9, v3, v6
	v_add_f16_sdwa v10, v6, v3 dst_sel:DWORD dst_unused:UNUSED_PAD src0_sel:WORD_1 src1_sel:WORD_1
	v_sub_f16_e32 v11, v3, v6
	v_sub_f16_sdwa v3, v3, v6 dst_sel:DWORD dst_unused:UNUSED_PAD src0_sel:WORD_1 src1_sel:WORD_1
	v_fma_f16 v6, v11, v8, v9
	v_fma_f16 v15, v10, v8, v3
	v_fma_f16 v9, -v11, v8, v9
	v_fma_f16 v3, v10, v8, -v3
	s_waitcnt vmcnt(4)
	v_lshrrev_b32_e32 v8, 16, v13
	v_fma_f16 v6, -v12, v10, v6
	v_fmac_f16_e32 v15, v11, v12
	v_fmac_f16_e32 v9, v12, v10
	v_fmac_f16_e32 v3, v11, v12
	v_pack_b32_f16 v6, v6, v15
	;; [unrolled: 21-line block ×3, first 2 shown]
	v_pack_b32_f16 v3, v9, v3
	ds_write_b32 v51, v6 offset:2520
	ds_write_b32 v2, v3 offset:6480
	ds_read_b32 v3, v51 offset:2880
	ds_read_b32 v6, v2 offset:6120
	s_waitcnt lgkmcnt(0)
	v_add_f16_e32 v9, v3, v6
	v_add_f16_sdwa v10, v6, v3 dst_sel:DWORD dst_unused:UNUSED_PAD src0_sel:WORD_1 src1_sel:WORD_1
	v_sub_f16_e32 v11, v3, v6
	v_sub_f16_sdwa v3, v3, v6 dst_sel:DWORD dst_unused:UNUSED_PAD src0_sel:WORD_1 src1_sel:WORD_1
	v_fma_f16 v6, v11, v8, v9
	v_fma_f16 v12, v10, v8, v3
	v_fma_f16 v9, -v11, v8, v9
	v_fma_f16 v3, v10, v8, -v3
	v_fma_f16 v6, -v14, v10, v6
	v_fmac_f16_e32 v12, v11, v14
	v_fmac_f16_e32 v9, v14, v10
	;; [unrolled: 1-line block ×3, first 2 shown]
	v_pack_b32_f16 v6, v6, v12
	v_pack_b32_f16 v3, v9, v3
	ds_write_b32 v51, v6 offset:2880
	ds_write_b32 v2, v3 offset:6120
	ds_read_b32 v3, v51 offset:3240
	ds_read_b32 v6, v2 offset:5760
	s_waitcnt lgkmcnt(0)
	v_add_f16_e32 v9, v3, v6
	v_add_f16_sdwa v10, v6, v3 dst_sel:DWORD dst_unused:UNUSED_PAD src0_sel:WORD_1 src1_sel:WORD_1
	v_sub_f16_e32 v11, v3, v6
	v_sub_f16_sdwa v3, v3, v6 dst_sel:DWORD dst_unused:UNUSED_PAD src0_sel:WORD_1 src1_sel:WORD_1
	s_waitcnt vmcnt(2)
	v_lshrrev_b32_e32 v8, 16, v4
	v_fma_f16 v6, v11, v8, v9
	v_fma_f16 v12, v10, v8, v3
	v_fma_f16 v9, -v11, v8, v9
	v_fma_f16 v3, v10, v8, -v3
	v_fma_f16 v6, -v4, v10, v6
	v_fmac_f16_e32 v12, v11, v4
	v_fmac_f16_e32 v9, v4, v10
	;; [unrolled: 1-line block ×3, first 2 shown]
	v_pack_b32_f16 v4, v6, v12
	v_pack_b32_f16 v3, v9, v3
	ds_write_b32 v51, v4 offset:3240
	ds_write_b32 v2, v3 offset:5760
	ds_read_b32 v3, v51 offset:3600
	ds_read_b32 v4, v2 offset:5400
	s_waitcnt lgkmcnt(0)
	v_add_f16_e32 v8, v3, v4
	v_add_f16_sdwa v9, v4, v3 dst_sel:DWORD dst_unused:UNUSED_PAD src0_sel:WORD_1 src1_sel:WORD_1
	s_waitcnt vmcnt(1)
	v_lshrrev_b32_e32 v6, 16, v7
	v_sub_f16_e32 v10, v3, v4
	v_sub_f16_sdwa v3, v3, v4 dst_sel:DWORD dst_unused:UNUSED_PAD src0_sel:WORD_1 src1_sel:WORD_1
	v_fma_f16 v4, v10, v6, v8
	v_fma_f16 v11, v9, v6, v3
	v_fma_f16 v8, -v10, v6, v8
	v_fma_f16 v3, v9, v6, -v3
	v_fma_f16 v4, -v7, v9, v4
	v_fmac_f16_e32 v11, v10, v7
	v_fmac_f16_e32 v8, v7, v9
	;; [unrolled: 1-line block ×3, first 2 shown]
	v_pack_b32_f16 v4, v4, v11
	v_pack_b32_f16 v3, v8, v3
	ds_write_b32 v51, v4 offset:3600
	ds_write_b32 v2, v3 offset:5400
	ds_read_b32 v3, v51 offset:3960
	ds_read_b32 v4, v2 offset:5040
	s_waitcnt vmcnt(0)
	v_lshrrev_b32_e32 v6, 16, v5
	s_waitcnt lgkmcnt(0)
	v_add_f16_e32 v7, v3, v4
	v_add_f16_sdwa v8, v4, v3 dst_sel:DWORD dst_unused:UNUSED_PAD src0_sel:WORD_1 src1_sel:WORD_1
	v_sub_f16_e32 v9, v3, v4
	v_sub_f16_sdwa v3, v3, v4 dst_sel:DWORD dst_unused:UNUSED_PAD src0_sel:WORD_1 src1_sel:WORD_1
	v_fma_f16 v4, v9, v6, v7
	v_fma_f16 v10, v8, v6, v3
	v_fma_f16 v7, -v9, v6, v7
	v_fma_f16 v3, v8, v6, -v3
	v_fma_f16 v4, -v5, v8, v4
	v_fmac_f16_e32 v10, v9, v5
	v_fmac_f16_e32 v7, v5, v8
	;; [unrolled: 1-line block ×3, first 2 shown]
	v_pack_b32_f16 v4, v4, v10
	v_pack_b32_f16 v3, v7, v3
	ds_write_b32 v51, v4 offset:3960
	ds_write_b32 v2, v3 offset:5040
	s_and_saveexec_b32 s4, s0
	s_cbranch_execz .LBB0_21
; %bb.20:
	v_add_co_u32 v0, s1, 0x1000, v0
	v_add_co_ci_u32_e64 v1, s1, 0, v1, s1
	global_load_dword v0, v[0:1], off offset:224
	ds_read_b32 v1, v51 offset:4320
	ds_read_b32 v3, v2 offset:4680
	s_waitcnt lgkmcnt(0)
	v_add_f16_e32 v4, v1, v3
	v_add_f16_sdwa v5, v3, v1 dst_sel:DWORD dst_unused:UNUSED_PAD src0_sel:WORD_1 src1_sel:WORD_1
	v_sub_f16_e32 v6, v1, v3
	v_sub_f16_sdwa v1, v1, v3 dst_sel:DWORD dst_unused:UNUSED_PAD src0_sel:WORD_1 src1_sel:WORD_1
	s_waitcnt vmcnt(0)
	v_lshrrev_b32_e32 v7, 16, v0
	v_fma_f16 v3, v6, v7, v4
	v_fma_f16 v8, v5, v7, v1
	v_fma_f16 v4, -v6, v7, v4
	v_fma_f16 v1, v5, v7, -v1
	v_fma_f16 v3, -v0, v5, v3
	v_fmac_f16_e32 v8, v6, v0
	v_fmac_f16_e32 v4, v0, v5
	;; [unrolled: 1-line block ×3, first 2 shown]
	v_pack_b32_f16 v0, v3, v8
	v_pack_b32_f16 v1, v4, v1
	ds_write_b32 v51, v0 offset:4320
	ds_write_b32 v2, v1 offset:4680
.LBB0_21:
	s_or_b32 exec_lo, exec_lo, s4
	v_add_nc_u32_e32 v38, 0xc00, v51
	v_add_nc_u32_e32 v0, 0x1200, v51
	;; [unrolled: 1-line block ×9, first 2 shown]
	s_waitcnt lgkmcnt(0)
	s_barrier
	buffer_gl0_inv
	s_barrier
	buffer_gl0_inv
	ds_read2_b32 v[27:28], v38 offset0:132 offset1:222
	ds_read2_b32 v[12:13], v23 offset0:70 offset1:160
	ds_read2_b32 v[16:17], v51 offset1:90
	ds_read2_b32 v[18:19], v1 offset0:66 offset1:156
	ds_read2_b32 v[14:15], v37 offset0:8 offset1:98
	;; [unrolled: 1-line block ×7, first 2 shown]
	v_add_nc_u32_e32 v43, 0x1000, v51
	v_add_nc_u32_e32 v47, 0x1600, v51
	ds_read2_b32 v[10:11], v51 offset0:180 offset1:225
	s_waitcnt lgkmcnt(9)
	v_add_f16_e32 v29, v28, v13
	s_waitcnt lgkmcnt(8)
	v_lshrrev_b32_e32 v44, 16, v17
	v_add_f16_sdwa v30, v28, v13 dst_sel:DWORD dst_unused:UNUSED_PAD src0_sel:WORD_1 src1_sel:WORD_1
	s_waitcnt lgkmcnt(3)
	v_lshrrev_b32_e32 v35, 16, v0
	v_add_f16_e32 v31, v6, v8
	v_add_f16_sdwa v32, v6, v8 dst_sel:DWORD dst_unused:UNUSED_PAD src0_sel:WORD_1 src1_sel:WORD_1
	s_waitcnt lgkmcnt(1)
	v_sub_f16_sdwa v59, v2, v4 dst_sel:DWORD dst_unused:UNUSED_PAD src0_sel:WORD_1 src1_sel:WORD_1
	v_sub_f16_e32 v64, v2, v4
	v_sub_f16_sdwa v57, v6, v8 dst_sel:DWORD dst_unused:UNUSED_PAD src0_sel:WORD_1 src1_sel:WORD_1
	v_fma_f16 v55, -0.5, v31, v0
	v_fma_f16 v56, -0.5, v32, v35
	v_sub_f16_e32 v32, v4, v8
	v_sub_f16_e32 v65, v6, v8
	v_sub_f16_sdwa v34, v2, v6 dst_sel:DWORD dst_unused:UNUSED_PAD src0_sel:WORD_1 src1_sel:WORD_1
	v_fmamk_f16 v31, v59, 0xbb9c, v55
	v_fmamk_f16 v33, v64, 0x3b9c, v56
	v_sub_f16_sdwa v36, v4, v8 dst_sel:DWORD dst_unused:UNUSED_PAD src0_sel:WORD_1 src1_sel:WORD_1
	v_sub_f16_e32 v42, v2, v6
	v_sub_f16_sdwa v48, v19, v15 dst_sel:DWORD dst_unused:UNUSED_PAD src0_sel:WORD_1 src1_sel:WORD_1
	v_fma_f16 v45, -0.5, v29, v17
	v_sub_f16_e32 v50, v19, v15
	v_fma_f16 v53, -0.5, v30, v44
	v_fmac_f16_e32 v31, 0xb8b4, v57
	v_fmac_f16_e32 v33, 0x38b4, v65
	v_add_f16_e32 v63, v34, v36
	v_add_f16_e32 v60, v42, v32
	v_sub_f16_sdwa v46, v28, v13 dst_sel:DWORD dst_unused:UNUSED_PAD src0_sel:WORD_1 src1_sel:WORD_1
	v_sub_f16_e32 v29, v15, v13
	v_fmamk_f16 v49, v48, 0xbb9c, v45
	v_sub_f16_e32 v30, v19, v28
	v_fmamk_f16 v54, v50, 0x3b9c, v53
	v_sub_f16_e32 v62, v28, v13
	v_sub_f16_sdwa v32, v19, v28 dst_sel:DWORD dst_unused:UNUSED_PAD src0_sel:WORD_1 src1_sel:WORD_1
	v_sub_f16_sdwa v34, v15, v13 dst_sel:DWORD dst_unused:UNUSED_PAD src0_sel:WORD_1 src1_sel:WORD_1
	v_fmac_f16_e32 v33, 0x34f2, v63
	v_fmac_f16_e32 v31, 0x34f2, v60
	;; [unrolled: 1-line block ×3, first 2 shown]
	v_add_f16_e32 v61, v30, v29
	v_fmac_f16_e32 v54, 0x38b4, v62
	v_add_f16_e32 v58, v32, v34
	v_mul_f16_e32 v66, 0xb8b4, v33
	v_mul_f16_e32 v67, 0x38b4, v31
	v_fmac_f16_e32 v49, 0x34f2, v61
	v_pk_add_f16 v29, v17, v19
	v_fmac_f16_e32 v54, 0x34f2, v58
	v_fmac_f16_e32 v66, 0x3a79, v31
	;; [unrolled: 1-line block ×3, first 2 shown]
	v_add_f16_e32 v34, v19, v15
	v_pk_add_f16 v29, v29, v28
	v_pk_add_f16 v30, v0, v2
	v_add_f16_e32 v31, v49, v66
	v_add_f16_e32 v32, v54, v67
	v_fma_f16 v69, -0.5, v34, v17
	v_pk_add_f16 v29, v29, v13
	v_sub_f16_e32 v17, v13, v15
	v_pk_add_f16 v30, v30, v6
	v_pack_b32_f16 v68, v31, v32
	v_sub_f16_e32 v31, v28, v19
	v_fmamk_f16 v72, v46, 0x3b9c, v69
	v_fmac_f16_e32 v69, 0xbb9c, v46
	v_pk_add_f16 v70, v29, v15
	v_add_f16_sdwa v36, v19, v15 dst_sel:DWORD dst_unused:UNUSED_PAD src0_sel:WORD_1 src1_sel:WORD_1
	v_add_f16_e32 v17, v31, v17
	v_fmac_f16_e32 v72, 0xb8b4, v48
	v_fmac_f16_e32 v69, 0x38b4, v48
	v_sub_f16_sdwa v13, v13, v15 dst_sel:DWORD dst_unused:UNUSED_PAD src0_sel:WORD_1 src1_sel:WORD_1
	v_add_f16_sdwa v15, v2, v4 dst_sel:DWORD dst_unused:UNUSED_PAD src0_sel:WORD_1 src1_sel:WORD_1
	v_pk_add_f16 v30, v30, v8
	v_fmac_f16_e32 v72, 0x34f2, v17
	v_fmac_f16_e32 v69, 0x34f2, v17
	v_add_f16_e32 v17, v2, v4
	v_fmac_f16_e32 v35, -0.5, v15
	v_pk_add_f16 v71, v30, v4
	v_sub_f16_e32 v15, v8, v4
	v_sub_f16_sdwa v4, v8, v4 dst_sel:DWORD dst_unused:UNUSED_PAD src0_sel:WORD_1 src1_sel:WORD_1
	v_fma_f16 v0, -0.5, v17, v0
	v_sub_f16_sdwa v17, v6, v2 dst_sel:DWORD dst_unused:UNUSED_PAD src0_sel:WORD_1 src1_sel:WORD_1
	v_fmamk_f16 v8, v65, 0xbb9c, v35
	v_fmac_f16_e32 v35, 0x3b9c, v65
	v_fmac_f16_e32 v44, -0.5, v36
	v_sub_f16_e32 v2, v6, v2
	v_fmamk_f16 v6, v57, 0x3b9c, v0
	v_fmac_f16_e32 v0, 0xbb9c, v57
	v_add_f16_e32 v4, v17, v4
	v_fmac_f16_e32 v35, 0xb8b4, v64
	v_fmac_f16_e32 v8, 0x38b4, v64
	v_add_nc_u32_e32 v42, 0x800, v51
	v_mul_u32_u24_e32 v33, 10, v22
	v_sub_f16_sdwa v19, v28, v19 dst_sel:DWORD dst_unused:UNUSED_PAD src0_sel:WORD_1 src1_sel:WORD_1
	v_fmamk_f16 v28, v62, 0xbb9c, v44
	v_fmac_f16_e32 v44, 0x3b9c, v62
	v_add_f16_e32 v2, v2, v15
	v_fmac_f16_e32 v6, 0xb8b4, v59
	v_fmac_f16_e32 v0, 0x38b4, v59
	;; [unrolled: 1-line block ×4, first 2 shown]
	v_lshl_add_u32 v52, v33, 2, 0
	ds_read2_b32 v[29:30], v42 offset0:118 offset1:163
	ds_read2_b32 v[31:32], v43 offset0:56 offset1:101
	;; [unrolled: 1-line block ×3, first 2 shown]
	v_add_f16_e32 v13, v19, v13
	v_fmac_f16_e32 v28, 0x38b4, v50
	v_fmac_f16_e32 v44, 0xb8b4, v50
	;; [unrolled: 1-line block ×4, first 2 shown]
	v_mul_f16_e32 v15, 0xbb9c, v35
	v_mul_f16_e32 v19, 0xb4f2, v35
	;; [unrolled: 1-line block ×4, first 2 shown]
	v_fmac_f16_e32 v28, 0x34f2, v13
	v_fmac_f16_e32 v44, 0x34f2, v13
	v_fmac_f16_e32 v15, 0xb4f2, v0
	v_fmac_f16_e32 v19, 0x3b9c, v0
	v_fmac_f16_e32 v73, 0x34f2, v6
	v_fmac_f16_e32 v74, 0x3b9c, v6
	ds_read2_b32 v[35:36], v37 offset0:188 offset1:233
	v_add_f16_e32 v0, v69, v15
	v_add_f16_e32 v2, v44, v19
	;; [unrolled: 1-line block ×4, first 2 shown]
	v_add_nc_u32_e32 v8, 0xe10, v52
	v_pk_add_f16 v13, v70, v71
	v_pack_b32_f16 v0, v0, v2
	s_waitcnt lgkmcnt(0)
	v_pack_b32_f16 v2, v4, v6
	v_pk_add_f16 v6, v16, v18
	v_add_nc_u32_e32 v4, 0xe18, v52
	s_barrier
	buffer_gl0_inv
	ds_write2_b32 v8, v13, v68 offset1:1
	ds_write2_b32 v4, v2, v0 offset1:1
	v_pk_add_f16 v0, v6, v27
	v_sub_f16_e32 v6, v18, v27
	v_sub_f16_e32 v78, v14, v12
	v_add_f16_sdwa v80, v32, v34 dst_sel:DWORD dst_unused:UNUSED_PAD src0_sel:WORD_1 src1_sel:WORD_1
	v_lshrrev_b32_e32 v81, 16, v11
	v_sub_f16_e32 v84, v30, v36
	v_sub_f16_e32 v82, v36, v34
	v_add_f16_e32 v6, v6, v78
	v_add_f16_e32 v78, v32, v34
	v_fma_f16 v80, -0.5, v80, v81
	v_sub_f16_e32 v83, v30, v32
	v_sub_f16_sdwa v85, v30, v36 dst_sel:DWORD dst_unused:UNUSED_PAD src0_sel:WORD_1 src1_sel:WORD_1
	v_sub_f16_sdwa v86, v30, v32 dst_sel:DWORD dst_unused:UNUSED_PAD src0_sel:WORD_1 src1_sel:WORD_1
	v_fma_f16 v78, -0.5, v78, v11
	v_sub_f16_sdwa v87, v36, v34 dst_sel:DWORD dst_unused:UNUSED_PAD src0_sel:WORD_1 src1_sel:WORD_1
	v_fmamk_f16 v88, v84, 0x3b9c, v80
	v_sub_f16_e32 v89, v32, v34
	v_sub_f16_sdwa v91, v32, v34 dst_sel:DWORD dst_unused:UNUSED_PAD src0_sel:WORD_1 src1_sel:WORD_1
	v_fmamk_f16 v90, v85, 0xbb9c, v78
	v_add_f16_e32 v82, v83, v82
	v_add_f16_e32 v83, v86, v87
	v_fmac_f16_e32 v88, 0x38b4, v89
	v_add_f16_e32 v2, v27, v12
	v_fmac_f16_e32 v90, 0xb8b4, v91
	v_add_f16_e32 v76, v18, v14
	v_pk_add_f16 v0, v0, v12
	v_fmac_f16_e32 v88, 0x34f2, v83
	v_sub_f16_sdwa v4, v27, v12 dst_sel:DWORD dst_unused:UNUSED_PAD src0_sel:WORD_1 src1_sel:WORD_1
	v_fmac_f16_e32 v90, 0x34f2, v82
	v_sub_f16_e32 v8, v27, v18
	v_add_f16_sdwa v13, v27, v12 dst_sel:DWORD dst_unused:UNUSED_PAD src0_sel:WORD_1 src1_sel:WORD_1
	v_mul_f16_e32 v93, 0xb8b4, v88
	v_sub_f16_e32 v17, v27, v12
	v_sub_f16_sdwa v68, v18, v27 dst_sel:DWORD dst_unused:UNUSED_PAD src0_sel:WORD_1 src1_sel:WORD_1
	v_sub_f16_sdwa v27, v27, v18 dst_sel:DWORD dst_unused:UNUSED_PAD src0_sel:WORD_1 src1_sel:WORD_1
	;; [unrolled: 1-line block ×3, first 2 shown]
	v_sub_f16_e32 v77, v18, v14
	v_add_f16_sdwa v18, v18, v14 dst_sel:DWORD dst_unused:UNUSED_PAD src0_sel:WORD_1 src1_sel:WORD_1
	v_sub_f16_sdwa v79, v14, v12 dst_sel:DWORD dst_unused:UNUSED_PAD src0_sel:WORD_1 src1_sel:WORD_1
	v_lshrrev_b32_e32 v92, 16, v16
	v_fma_f16 v2, -0.5, v2, v16
	v_pk_add_f16 v87, v11, v30
	v_mul_f16_e32 v94, 0x38b4, v90
	v_fmac_f16_e32 v93, 0x3a79, v90
	v_pk_add_f16 v0, v0, v14
	v_fma_f16 v16, -0.5, v76, v16
	v_sub_f16_e32 v90, v12, v14
	v_sub_f16_sdwa v12, v12, v14 dst_sel:DWORD dst_unused:UNUSED_PAD src0_sel:WORD_1 src1_sel:WORD_1
	v_add_f16_sdwa v14, v30, v36 dst_sel:DWORD dst_unused:UNUSED_PAD src0_sel:WORD_1 src1_sel:WORD_1
	v_fma_f16 v13, -0.5, v13, v92
	v_pk_add_f16 v87, v87, v32
	v_fmamk_f16 v95, v4, 0x3b9c, v16
	v_fmac_f16_e32 v16, 0xbb9c, v4
	v_fmac_f16_e32 v92, -0.5, v18
	v_add_f16_e32 v18, v30, v36
	v_fmac_f16_e32 v81, -0.5, v14
	v_pk_add_f16 v87, v87, v34
	v_add_f16_e32 v8, v8, v90
	v_fmac_f16_e32 v95, 0xb8b4, v75
	v_fmac_f16_e32 v16, 0x38b4, v75
	v_add_f16_e32 v12, v27, v12
	v_sub_f16_e32 v14, v34, v36
	v_fma_f16 v11, -0.5, v18, v11
	v_sub_f16_sdwa v18, v32, v30 dst_sel:DWORD dst_unused:UNUSED_PAD src0_sel:WORD_1 src1_sel:WORD_1
	v_sub_f16_sdwa v27, v34, v36 dst_sel:DWORD dst_unused:UNUSED_PAD src0_sel:WORD_1 src1_sel:WORD_1
	v_fmamk_f16 v34, v89, 0xbb9c, v81
	v_fmac_f16_e32 v81, 0x3b9c, v89
	v_fmac_f16_e32 v95, 0x34f2, v8
	v_fmac_f16_e32 v16, 0x34f2, v8
	v_fmamk_f16 v8, v17, 0xbb9c, v92
	v_fmac_f16_e32 v92, 0x3b9c, v17
	v_sub_f16_e32 v30, v32, v30
	v_fmamk_f16 v32, v91, 0x3b9c, v11
	v_fmac_f16_e32 v11, 0xbb9c, v91
	v_add_f16_e32 v18, v18, v27
	v_fmac_f16_e32 v81, 0xb8b4, v84
	v_fmac_f16_e32 v80, 0xbb9c, v84
	;; [unrolled: 1-line block ×4, first 2 shown]
	v_add_f16_e32 v14, v30, v14
	v_fmac_f16_e32 v11, 0x38b4, v85
	v_fmac_f16_e32 v34, 0x38b4, v84
	;; [unrolled: 1-line block ×5, first 2 shown]
	v_add_f16_e32 v68, v68, v79
	v_fmamk_f16 v79, v75, 0xbb9c, v2
	v_fmamk_f16 v86, v77, 0x3b9c, v13
	v_fmac_f16_e32 v8, 0x34f2, v12
	v_fmac_f16_e32 v32, 0xb8b4, v85
	;; [unrolled: 1-line block ×4, first 2 shown]
	v_mul_f16_e32 v18, 0xbb9c, v81
	v_fmac_f16_e32 v92, 0x34f2, v12
	v_mul_f16_e32 v12, 0xb4f2, v81
	v_fmac_f16_e32 v2, 0x3b9c, v75
	v_fmac_f16_e32 v13, 0xbb9c, v77
	v_fmac_f16_e32 v78, 0x38b4, v91
	v_fmac_f16_e32 v80, 0x34f2, v83
	v_fmac_f16_e32 v79, 0xb8b4, v4
	v_fmac_f16_e32 v86, 0x38b4, v17
	v_fmac_f16_e32 v32, 0x34f2, v14
	v_mul_f16_e32 v14, 0xbb9c, v34
	v_fmac_f16_e32 v18, 0xb4f2, v11
	v_mul_f16_e32 v27, 0x34f2, v34
	v_fmac_f16_e32 v12, 0x3b9c, v11
	v_fmac_f16_e32 v2, 0x38b4, v4
	;; [unrolled: 1-line block ×4, first 2 shown]
	v_mul_f16_e32 v4, 0xb8b4, v80
	v_mul_f16_e32 v17, 0xba79, v80
	v_fmac_f16_e32 v94, 0x3a79, v88
	v_fmac_f16_e32 v79, 0x34f2, v6
	;; [unrolled: 1-line block ×5, first 2 shown]
	v_add_f16_e32 v11, v16, v18
	v_add_f16_e32 v30, v92, v12
	v_fmac_f16_e32 v2, 0x34f2, v6
	v_fmac_f16_e32 v13, 0x34f2, v68
	;; [unrolled: 1-line block ×4, first 2 shown]
	v_add_f16_e32 v76, v79, v93
	v_add_f16_e32 v88, v86, v94
	v_pk_add_f16 v87, v87, v36
	v_pack_b32_f16 v6, v11, v30
	v_add_f16_e32 v11, v95, v14
	v_add_f16_e32 v30, v8, v27
	;; [unrolled: 1-line block ×4, first 2 shown]
	v_sub_f16_e32 v36, v79, v93
	v_sub_f16_e32 v14, v95, v14
	;; [unrolled: 1-line block ×4, first 2 shown]
	v_pack_b32_f16 v76, v76, v88
	v_pk_add_f16 v88, v0, v87
	v_pack_b32_f16 v11, v11, v30
	v_pk_add_f16 v0, v0, v87 neg_lo:[0,1] neg_hi:[0,1]
	v_pack_b32_f16 v30, v32, v34
	v_pack_b32_f16 v8, v14, v8
	;; [unrolled: 1-line block ×3, first 2 shown]
	ds_write2_b32 v52, v88, v76 offset1:1
	v_sub_f16_e32 v16, v16, v18
	v_sub_f16_e32 v2, v2, v4
	;; [unrolled: 1-line block ×4, first 2 shown]
	ds_write2_b32 v52, v11, v6 offset0:2 offset1:3
	ds_write2_b32 v52, v30, v0 offset0:4 offset1:5
	;; [unrolled: 1-line block ×3, first 2 shown]
	v_pk_add_f16 v11, v7, v9
	v_pk_add_f16 v6, v3, v5 neg_lo:[0,1] neg_hi:[0,1]
	v_pack_b32_f16 v18, v2, v4
	v_pack_b32_f16 v27, v16, v12
	v_pk_add_f16 v2, v29, v31 neg_lo:[0,1] neg_hi:[0,1]
	v_pk_add_f16 v4, v35, v33 neg_lo:[0,1] neg_hi:[0,1]
	v_pk_add_f16 v8, v31, v33
	v_pk_add_f16 v0, v29, v35 neg_lo:[0,1] neg_hi:[0,1]
	v_pk_fma_f16 v11, v11, 0.5, v1 op_sel_hi:[1,0,1] neg_lo:[1,0,0] neg_hi:[1,0,0]
	v_pk_mul_f16 v14, 0x3b9c, v6 op_sel_hi:[0,1]
	v_pk_add_f16 v12, v7, v9 neg_lo:[0,1] neg_hi:[0,1]
	v_pk_add_f16 v16, v3, v7 neg_lo:[0,1] neg_hi:[0,1]
	;; [unrolled: 1-line block ×3, first 2 shown]
	v_pk_add_f16 v2, v2, v4
	v_pk_fma_f16 v4, v8, 0.5, v10 op_sel_hi:[1,0,1] neg_lo:[1,0,0] neg_hi:[1,0,0]
	v_pk_mul_f16 v8, 0x3b9c, v0 op_sel_hi:[0,1]
	v_pk_add_f16 v13, v31, v33 neg_lo:[0,1] neg_hi:[0,1]
	v_pk_add_f16 v14, v11, v14 op_sel:[0,1] op_sel_hi:[1,0]
	v_pk_mul_f16 v32, 0x38b4, v12 op_sel_hi:[0,1]
	v_pk_add_f16 v16, v16, v17
	v_pk_fma_f16 v11, 0x3b9c, v6, v11 op_sel:[0,0,1] op_sel_hi:[0,1,0] neg_lo:[0,1,0] neg_hi:[0,1,0]
	v_pk_add_f16 v30, v4, v8 op_sel:[0,1] op_sel_hi:[1,0] neg_lo:[0,1] neg_hi:[0,1]
	v_pk_mul_f16 v17, 0x38b4, v13 op_sel_hi:[0,1]
	v_pk_add_f16 v4, v4, v8 op_sel:[0,1] op_sel_hi:[1,0]
	v_pk_add_f16 v8, v32, v14 op_sel:[1,0] op_sel_hi:[0,1]
	v_pk_mul_f16 v14, 0x34f2, v16 op_sel_hi:[0,1]
	v_pk_fma_f16 v11, 0x38b4, v12, v11 op_sel_hi:[0,1,1] neg_lo:[0,1,0] neg_hi:[0,1,0]
	v_pk_add_f16 v30, v30, v17 op_sel:[0,1] op_sel_hi:[1,0] neg_lo:[0,1] neg_hi:[0,1]
	v_pk_add_f16 v4, v17, v4 op_sel:[1,0] op_sel_hi:[0,1]
	v_pk_fma_f16 v16, 0x34f2, v16, v8 op_sel_hi:[0,1,1]
	v_mov_b32_e32 v8, 0xb8b4
	v_pk_add_f16 v14, v14, v11 op_sel:[1,0] op_sel_hi:[0,1]
	v_fmac_f16_e32 v56, 0xbb9c, v64
	v_pk_fma_f16 v11, 0x34f2, v2, v30 op_sel_hi:[0,1,1]
	v_pk_fma_f16 v2, 0x34f2, v2, v4 op_sel_hi:[0,1,1]
	v_mul_f16_sdwa v8, v16, v8 dst_sel:DWORD dst_unused:UNUSED_PAD src0_sel:WORD_1 src1_sel:DWORD
	v_lshrrev_b32_e32 v4, 16, v14
	v_fmac_f16_e32 v55, 0x3b9c, v59
	v_fmac_f16_e32 v56, 0xb8b4, v65
	v_pk_mul_f16 v30, 0x38b4, v14 op_sel_hi:[0,1]
	v_fmac_f16_e32 v45, 0x3b9c, v48
	v_fmac_f16_e32 v53, 0xbb9c, v50
	;; [unrolled: 1-line block ×3, first 2 shown]
	v_mul_f16_e32 v17, 0xba79, v14
	v_fmac_f16_e32 v55, 0x38b4, v57
	v_fmac_f16_e32 v56, 0x34f2, v63
	v_pk_fma_f16 v4, 0x3a79ba79, v16, v30 neg_lo:[0,0,1] neg_hi:[0,0,1]
	v_pk_fma_f16 v14, 0x3a79ba79, v16, v30
	v_pk_add_f16 v30, v10, v29
	v_pk_add_f16 v32, v1, v3
	v_fmac_f16_e32 v45, 0x38b4, v46
	v_fmac_f16_e32 v53, 0xb8b4, v62
	;; [unrolled: 1-line block ×4, first 2 shown]
	v_mul_f16_e32 v16, 0xb8b4, v56
	v_mul_f16_e32 v36, 0xba79, v56
	v_pk_add_f16 v30, v30, v31
	v_pk_add_f16 v32, v32, v7
	v_fmac_f16_e32 v45, 0x34f2, v61
	v_fmac_f16_e32 v53, 0x34f2, v58
	;; [unrolled: 1-line block ×4, first 2 shown]
	v_pk_add_f16 v30, v30, v33
	v_pk_add_f16 v32, v32, v9
	v_sub_f16_e32 v46, v49, v66
	v_sub_f16_e32 v49, v69, v15
	v_add_f16_e32 v50, v45, v16
	v_sub_f16_e32 v45, v45, v16
	v_pk_add_f16 v15, v30, v35
	v_pk_add_f16 v16, v32, v5
	v_bfi_b32 v14, 0xffff, v4, v14
	v_sub_f16_e32 v30, v54, v67
	v_add_f16_e32 v54, v53, v36
	v_sub_f16_e32 v53, v53, v36
	v_sub_f16_e32 v48, v72, v73
	;; [unrolled: 1-line block ×4, first 2 shown]
	v_add_f16_sdwa v32, v11, v17 dst_sel:DWORD dst_unused:UNUSED_PAD src0_sel:WORD_1 src1_sel:DWORD
	v_sub_f16_e32 v34, v11, v8
	v_pk_add_f16 v36, v15, v16 neg_lo:[0,1] neg_hi:[0,1]
	v_pk_add_f16 v44, v2, v14
	v_pack_b32_f16 v53, v45, v53
	v_pk_add_f16 v45, v2, v14 neg_lo:[0,1] neg_hi:[0,1]
	v_pk_add_f16 v55, v70, v71 neg_lo:[0,1] neg_hi:[0,1]
	v_pack_b32_f16 v50, v50, v54
	v_add_nc_u32_e32 v54, 0xe20, v52
	v_pack_b32_f16 v28, v48, v28
	v_add_nc_u32_e32 v48, 0xe28, v52
	;; [unrolled: 2-line block ×3, first 2 shown]
	v_pack_b32_f16 v19, v49, v19
	ds_write2_b32 v52, v27, v18 offset0:8 offset1:9
	ds_write2_b32 v54, v50, v55 offset1:1
	ds_write2_b32 v48, v30, v28 offset1:1
	;; [unrolled: 1-line block ×3, first 2 shown]
	s_and_saveexec_b32 s1, s0
	s_cbranch_execz .LBB0_23
; %bb.22:
	v_pk_add_f16 v7, v7, v3 neg_lo:[0,1] neg_hi:[0,1]
	v_pk_add_f16 v9, v9, v5 neg_lo:[0,1] neg_hi:[0,1]
	v_add_f16_sdwa v18, v3, v5 dst_sel:DWORD dst_unused:UNUSED_PAD src0_sel:WORD_1 src1_sel:WORD_1
	v_lshrrev_b32_e32 v19, 16, v1
	v_add_f16_e32 v3, v3, v5
	v_pk_add_f16 v27, v29, v35
	v_pk_add_f16 v5, v7, v9
	v_lshrrev_b32_e32 v7, 16, v12
	v_fmac_f16_e32 v19, -0.5, v18
	v_fma_f16 v1, -0.5, v3, v1
	v_pk_fma_f16 v10, v27, -0.5, v10 op_sel_hi:[1,0,1]
	v_bfi_b32 v3, 0xffff, v5, v6
	v_lshrrev_b32_e32 v5, 16, v5
	v_fmamk_f16 v9, v12, 0x3b9c, v19
	v_fmamk_f16 v18, v7, 0xbb9c, v1
	v_fmac_f16_e32 v1, 0x3b9c, v7
	v_pk_mul_f16 v3, 0x38b434f2, v3
	v_fmac_f16_e32 v19, 0xbb9c, v12
	v_fmac_f16_e32 v9, 0xb8b4, v6
	v_pk_mul_f16 v12, 0x3b9c, v13 op_sel_hi:[0,1]
	v_pk_add_f16 v13, v33, v35 neg_lo:[0,1] neg_hi:[0,1]
	v_add_f16_sdwa v7, v3, v18 dst_sel:DWORD dst_unused:UNUSED_PAD src0_sel:WORD_1 src1_sel:DWORD
	v_sub_f16_sdwa v1, v1, v3 dst_sel:DWORD dst_unused:UNUSED_PAD src0_sel:DWORD src1_sel:WORD_1
	v_fmac_f16_e32 v9, 0x34f2, v5
	v_fmac_f16_e32 v19, 0x38b4, v6
	v_pk_mul_f16 v0, 0x38b4, v0 op_sel_hi:[0,1]
	v_add_f16_e32 v6, v3, v7
	v_add_f16_e32 v1, v3, v1
	v_mul_f16_e32 v7, 0xb4f2, v9
	v_mul_f16_e32 v3, 0xbb9c, v9
	v_pk_add_f16 v9, v31, v29 neg_lo:[0,1] neg_hi:[0,1]
	v_fmac_f16_e32 v19, 0x34f2, v5
	v_pk_add_f16 v5, v12, v10 op_sel:[1,0] op_sel_hi:[0,1]
	v_pk_add_f16 v10, v10, v12 op_sel:[0,1] op_sel_hi:[1,0] neg_lo:[0,1] neg_hi:[0,1]
	v_fmac_f16_e32 v7, 0x3b9c, v6
	v_pk_add_f16 v9, v9, v13
	v_fmac_f16_e32 v3, 0xb4f2, v6
	v_pk_add_f16 v5, v5, v0 op_sel:[0,1] op_sel_hi:[1,0] neg_lo:[0,1] neg_hi:[0,1]
	v_pk_add_f16 v0, v0, v10 op_sel:[1,0] op_sel_hi:[0,1]
	v_pk_mul_f16 v10, 0x34f23b9c, v19 op_sel_hi:[1,0]
	v_pk_mul_f16 v13, 0x34f2, v9 op_sel_hi:[0,1]
	v_pk_add_f16 v6, v15, v16
	v_sub_f16_sdwa v17, v11, v17 dst_sel:DWORD dst_unused:UNUSED_PAD src0_sel:WORD_1 src1_sel:DWORD
	v_bfi_b32 v15, 0xffff, v5, v0
	v_pk_fma_f16 v5, 0x34f2, v9, v5 op_sel_hi:[0,1,1]
	v_bfi_b32 v11, 0xffff, v11, v2
	v_pk_fma_f16 v16, 0x3b9c34f2, v1, v10 neg_lo:[0,0,1] neg_hi:[0,0,1]
	v_pk_fma_f16 v1, 0x3b9c34f2, v1, v10 op_sel_hi:[1,0,1]
	v_bfi_b32 v8, 0xffff, v8, v14
	v_add_f16_e32 v0, v13, v0
	v_alignbit_b32 v2, v2, v5, 16
	v_perm_b32 v4, v4, v7, 0x5040100
	v_pk_fma_f16 v9, 0x34f2, v9, v15 op_sel_hi:[0,1,1]
	v_bfi_b32 v1, 0xffff, v16, v1
	v_pk_add_f16 v8, v11, v8
	v_sub_f16_e32 v10, v0, v3
	v_add_f16_sdwa v11, v5, v7 dst_sel:DWORD dst_unused:UNUSED_PAD src0_sel:WORD_1 src1_sel:DWORD
	v_add_f16_e32 v0, v0, v3
	v_pk_add_f16 v2, v2, v4 neg_lo:[0,1] neg_hi:[0,1]
	v_add_nc_u32_e32 v12, 0x1c20, v52
	v_pk_add_f16 v3, v9, v1
	v_add_nc_u32_e32 v5, 0x1c28, v52
	v_pack_b32_f16 v0, v0, v11
	v_add_nc_u32_e32 v7, 0x1c30, v52
	v_perm_b32 v11, v32, v44, 0x5040100
	v_add_nc_u32_e32 v4, 0x1c38, v52
	v_pk_add_f16 v1, v9, v1 neg_lo:[0,1] neg_hi:[0,1]
	v_bfi_b32 v9, 0xffff, v34, v45
	v_add_nc_u32_e32 v13, 0x1c40, v52
	v_pack_b32_f16 v10, v10, v2
	v_alignbit_b32 v2, v17, v2, 16
	ds_write2_b32 v12, v6, v8 offset1:1
	ds_write2_b32 v5, v3, v0 offset1:1
	;; [unrolled: 1-line block ×5, first 2 shown]
.LBB0_23:
	s_or_b32 exec_lo, exec_lo, s1
	v_add_nc_u32_e32 v0, 0x200, v51
	s_waitcnt lgkmcnt(0)
	s_barrier
	buffer_gl0_inv
	ds_read2_b32 v[2:3], v51 offset1:90
	ds_read2_b32 v[12:13], v41 offset0:110 offset1:200
	ds_read2_b32 v[14:15], v47 offset0:92 offset1:182
	;; [unrolled: 1-line block ×6, first 2 shown]
	v_add_nc_u32_e32 v18, 0x1e00, v51
	ds_read2_b32 v[27:28], v43 offset0:86 offset1:176
	ds_read2_b32 v[29:30], v37 offset0:68 offset1:158
	;; [unrolled: 1-line block ×5, first 2 shown]
	v_bfi_b32 v31, 0xffff, v44, v45
	v_cmp_gt_u32_e64 s0, 30, v22
	s_and_saveexec_b32 s1, s0
	s_cbranch_execz .LBB0_25
; %bb.24:
	ds_read_b32 v23, v51 offset:2880
	ds_read_b32 v34, v51 offset:8880
	;; [unrolled: 1-line block ×3, first 2 shown]
	s_waitcnt lgkmcnt(2)
	v_lshrrev_b32_e32 v32, 16, v23
	s_waitcnt lgkmcnt(1)
	v_bfi_b32 v31, 0xffff, v23, v34
.LBB0_25:
	s_or_b32 exec_lo, exec_lo, s1
	v_add_nc_u32_e32 v23, 0x168, v22
	v_mov_b32_e32 v39, 0xcccd
	v_add_nc_u32_e32 v56, 0x1c2, v22
	v_add_nc_u32_e32 v57, 0x21c, v22
	;; [unrolled: 1-line block ×4, first 2 shown]
	v_mul_u32_u24_sdwa v35, v23, v39 dst_sel:DWORD dst_unused:UNUSED_PAD src0_sel:WORD_0 src1_sel:DWORD
	v_mul_u32_u24_sdwa v37, v56, v39 dst_sel:DWORD dst_unused:UNUSED_PAD src0_sel:WORD_0 src1_sel:DWORD
	v_mov_b32_e32 v40, 3
	v_mul_u32_u24_sdwa v38, v58, v39 dst_sel:DWORD dst_unused:UNUSED_PAD src0_sel:WORD_0 src1_sel:DWORD
	v_and_b32_e32 v33, 0xff, v22
	v_lshrrev_b32_e32 v47, 19, v35
	v_mul_u32_u24_sdwa v35, v57, v39 dst_sel:DWORD dst_unused:UNUSED_PAD src0_sel:WORD_0 src1_sel:DWORD
	v_lshrrev_b32_e32 v48, 19, v37
	v_mul_u32_u24_sdwa v42, v55, v39 dst_sel:DWORD dst_unused:UNUSED_PAD src0_sel:WORD_0 src1_sel:DWORD
	v_lshrrev_b32_e32 v77, 19, v38
	v_mul_lo_u16 v37, v47, 10
	v_lshrrev_b32_e32 v75, 19, v35
	v_mul_lo_u16 v35, v48, 10
	v_mul_lo_u16 v41, 0xcd, v33
	v_add_nc_u32_e32 v54, 0x5a, v22
	v_sub_nc_u16 v76, v23, v37
	v_mul_lo_u16 v38, v75, 10
	v_sub_nc_u16 v80, v56, v35
	v_lshrrev_b32_e32 v37, 19, v42
	v_lshrrev_b16 v78, 11, v41
	v_lshlrev_b32_sdwa v35, v40, v76 dst_sel:DWORD dst_unused:UNUSED_PAD src0_sel:DWORD src1_sel:WORD_0
	v_sub_nc_u16 v81, v57, v38
	v_lshlrev_b32_sdwa v38, v40, v80 dst_sel:DWORD dst_unused:UNUSED_PAD src0_sel:DWORD src1_sel:WORD_0
	v_mul_lo_u16 v41, v77, 10
	v_add_nc_u32_e32 v53, 0xb4, v22
	global_load_dwordx2 v[49:50], v35, s[12:13]
	v_add_nc_u32_e32 v52, 0x10e, v22
	global_load_dwordx2 v[59:60], v38, s[12:13]
	v_mul_lo_u16 v38, v37, 10
	v_mul_lo_u16 v35, v78, 10
	v_sub_nc_u16 v82, v58, v41
	v_lshlrev_b32_sdwa v41, v40, v81 dst_sel:DWORD dst_unused:UNUSED_PAD src0_sel:DWORD src1_sel:WORD_0
	v_mov_b32_e32 v79, 2
	v_sub_nc_u16 v38, v55, v38
	v_sub_nc_u16 v83, v22, v35
	v_lshlrev_b32_sdwa v35, v40, v82 dst_sel:DWORD dst_unused:UNUSED_PAD src0_sel:DWORD src1_sel:WORD_0
	global_load_dwordx2 v[61:62], v41, s[12:13]
	v_mov_b32_e32 v97, 0x78
	v_lshlrev_b32_sdwa v42, v40, v38 dst_sel:DWORD dst_unused:UNUSED_PAD src0_sel:DWORD src1_sel:WORD_0
	v_mul_u32_u24_e32 v47, 0x78, v47
	v_lshlrev_b32_sdwa v76, v79, v76 dst_sel:DWORD dst_unused:UNUSED_PAD src0_sel:DWORD src1_sel:WORD_0
	s_waitcnt lgkmcnt(4)
	v_lshrrev_b32_e32 v91, 16, v27
	s_waitcnt lgkmcnt(3)
	v_lshrrev_b32_e32 v92, 16, v29
	s_clause 0x1
	global_load_dwordx2 v[67:68], v42, s[12:13]
	global_load_dwordx2 v[63:64], v35, s[12:13]
	v_lshlrev_b32_sdwa v41, v40, v83 dst_sel:DWORD dst_unused:UNUSED_PAD src0_sel:DWORD src1_sel:BYTE_0
	v_and_b32_e32 v35, 0xff, v54
	v_lshrrev_b32_e32 v93, 16, v28
	v_lshrrev_b32_e32 v94, 16, v30
	s_waitcnt lgkmcnt(1)
	v_lshrrev_b32_e32 v95, 16, v16
	global_load_dwordx2 v[65:66], v41, s[12:13]
	v_mul_lo_u16 v41, 0xcd, v35
	s_waitcnt lgkmcnt(0)
	v_lshrrev_b32_e32 v96, 16, v18
	v_lshrrev_b32_e32 v98, 16, v17
	;; [unrolled: 1-line block ×4, first 2 shown]
	v_lshrrev_b16 v84, 11, v41
	v_mul_u32_u24_sdwa v41, v53, v39 dst_sel:DWORD dst_unused:UNUSED_PAD src0_sel:WORD_0 src1_sel:DWORD
	v_mul_u32_u24_sdwa v39, v52, v39 dst_sel:DWORD dst_unused:UNUSED_PAD src0_sel:WORD_0 src1_sel:DWORD
	v_lshrrev_b32_e32 v101, 16, v14
	v_lshrrev_b32_e32 v107, 16, v36
	v_mul_lo_u16 v42, v84, 10
	v_lshrrev_b32_e32 v85, 19, v41
	v_lshrrev_b32_e32 v87, 19, v39
	;; [unrolled: 1-line block ×3, first 2 shown]
	v_mul_u32_u24_sdwa v78, v78, v97 dst_sel:DWORD dst_unused:UNUSED_PAD src0_sel:WORD_0 src1_sel:DWORD
	v_sub_nc_u16 v86, v54, v42
	v_mul_lo_u16 v39, v85, 10
	v_mul_lo_u16 v42, v87, 10
	v_mul_u32_u24_e32 v85, 0x78, v85
	v_mul_u32_u24_e32 v87, 0x78, v87
	v_lshlrev_b32_sdwa v41, v40, v86 dst_sel:DWORD dst_unused:UNUSED_PAD src0_sel:DWORD src1_sel:BYTE_0
	v_sub_nc_u16 v88, v53, v39
	v_sub_nc_u16 v89, v52, v42
	v_mul_u32_u24_e32 v48, 0x78, v48
	v_mul_u32_u24_e32 v75, 0x78, v75
	global_load_dwordx2 v[69:70], v41, s[12:13]
	v_lshlrev_b32_sdwa v39, v40, v88 dst_sel:DWORD dst_unused:UNUSED_PAD src0_sel:DWORD src1_sel:WORD_0
	v_lshlrev_b32_sdwa v40, v40, v89 dst_sel:DWORD dst_unused:UNUSED_PAD src0_sel:DWORD src1_sel:WORD_0
	s_clause 0x1
	global_load_dwordx2 v[71:72], v39, s[12:13]
	global_load_dwordx2 v[73:74], v40, s[12:13]
	v_mul_u32_u24_e32 v77, 0x78, v77
	v_mul_u32_u24_sdwa v84, v84, v97 dst_sel:DWORD dst_unused:UNUSED_PAD src0_sel:WORD_0 src1_sel:DWORD
	v_lshlrev_b32_sdwa v83, v79, v83 dst_sel:DWORD dst_unused:UNUSED_PAD src0_sel:DWORD src1_sel:BYTE_0
	v_lshlrev_b32_sdwa v88, v79, v88 dst_sel:DWORD dst_unused:UNUSED_PAD src0_sel:DWORD src1_sel:WORD_0
	v_lshlrev_b32_sdwa v89, v79, v89 dst_sel:DWORD dst_unused:UNUSED_PAD src0_sel:DWORD src1_sel:WORD_0
	;; [unrolled: 1-line block ×5, first 2 shown]
	v_add3_u32 v76, 0, v47, v76
	v_lshlrev_b32_sdwa v47, v79, v86 dst_sel:DWORD dst_unused:UNUSED_PAD src0_sel:DWORD src1_sel:BYTE_0
	v_lshrrev_b32_e32 v90, 16, v11
	v_lshrrev_b32_e32 v102, 16, v13
	;; [unrolled: 1-line block ×6, first 2 shown]
	v_add3_u32 v78, 0, v78, v83
	v_add3_u32 v83, 0, v85, v88
	;; [unrolled: 1-line block ×7, first 2 shown]
	v_lshrrev_b32_e32 v42, 16, v2
	v_lshrrev_b32_e32 v43, 16, v4
	;; [unrolled: 1-line block ×8, first 2 shown]
	s_waitcnt vmcnt(0)
	s_barrier
	buffer_gl0_inv
	v_mul_f16_sdwa v82, v27, v49 dst_sel:DWORD dst_unused:UNUSED_PAD src0_sel:DWORD src1_sel:WORD_1
	v_mul_f16_sdwa v84, v29, v50 dst_sel:DWORD dst_unused:UNUSED_PAD src0_sel:DWORD src1_sel:WORD_1
	;; [unrolled: 1-line block ×8, first 2 shown]
	v_fma_f16 v82, v91, v49, -v82
	v_fma_f16 v84, v92, v50, -v84
	v_fmac_f16_e32 v86, v27, v49
	v_mul_f16_sdwa v110, v16, v61 dst_sel:DWORD dst_unused:UNUSED_PAD src0_sel:DWORD src1_sel:WORD_1
	v_mul_f16_sdwa v111, v18, v62 dst_sel:DWORD dst_unused:UNUSED_PAD src0_sel:DWORD src1_sel:WORD_1
	;; [unrolled: 1-line block ×4, first 2 shown]
	v_fmac_f16_e32 v87, v29, v50
	v_fmac_f16_e32 v88, v28, v59
	;; [unrolled: 1-line block ×3, first 2 shown]
	v_mul_f16_sdwa v47, v107, v67 dst_sel:DWORD dst_unused:UNUSED_PAD src0_sel:DWORD src1_sel:WORD_1
	v_mul_f16_sdwa v114, v98, v63 dst_sel:DWORD dst_unused:UNUSED_PAD src0_sel:DWORD src1_sel:WORD_1
	;; [unrolled: 1-line block ×7, first 2 shown]
	v_mul_f16_sdwa v118, v65, v100 dst_sel:DWORD dst_unused:UNUSED_PAD src0_sel:WORD_1 src1_sel:DWORD
	v_mul_f16_sdwa v119, v65, v12 dst_sel:DWORD dst_unused:UNUSED_PAD src0_sel:WORD_1 src1_sel:DWORD
	;; [unrolled: 1-line block ×4, first 2 shown]
	v_mul_f16_sdwa v123, v34, v68 dst_sel:DWORD dst_unused:UNUSED_PAD src0_sel:DWORD src1_sel:WORD_1
	v_fma_f16 v27, v93, v59, -v97
	v_fma_f16 v28, v94, v60, -v109
	;; [unrolled: 1-line block ×4, first 2 shown]
	v_fmac_f16_e32 v112, v16, v61
	v_fmac_f16_e32 v113, v18, v62
	;; [unrolled: 1-line block ×4, first 2 shown]
	v_fma_f16 v16, v98, v63, -v116
	v_fma_f16 v17, v99, v64, -v117
	;; [unrolled: 1-line block ×4, first 2 shown]
	v_fmac_f16_e32 v118, v65, v12
	v_fmac_f16_e32 v121, v66, v14
	;; [unrolled: 1-line block ×4, first 2 shown]
	v_sub_f16_e32 v91, v29, v30
	v_add_f16_e32 v92, v45, v29
	v_add_f16_e32 v29, v29, v30
	;; [unrolled: 1-line block ×4, first 2 shown]
	v_mul_f16_sdwa v49, v69, v102 dst_sel:DWORD dst_unused:UNUSED_PAD src0_sel:WORD_1 src1_sel:DWORD
	v_mul_f16_sdwa v36, v69, v13 dst_sel:DWORD dst_unused:UNUSED_PAD src0_sel:WORD_1 src1_sel:DWORD
	;; [unrolled: 1-line block ×4, first 2 shown]
	v_sub_f16_e32 v96, v16, v17
	v_mul_f16_sdwa v59, v71, v104 dst_sel:DWORD dst_unused:UNUSED_PAD src0_sel:WORD_1 src1_sel:DWORD
	v_mul_f16_sdwa v60, v71, v8 dst_sel:DWORD dst_unused:UNUSED_PAD src0_sel:WORD_1 src1_sel:DWORD
	;; [unrolled: 1-line block ×6, first 2 shown]
	v_mul_f16_sdwa v65, v90, v74 dst_sel:DWORD dst_unused:UNUSED_PAD src0_sel:DWORD src1_sel:WORD_1
	v_mul_f16_sdwa v66, v11, v74 dst_sel:DWORD dst_unused:UNUSED_PAD src0_sel:DWORD src1_sel:WORD_1
	v_fmac_f16_e32 v49, v69, v13
	v_fmac_f16_e32 v50, v70, v15
	v_fma_f16 v13, v69, v102, -v36
	v_fma_f16 v15, v70, v103, -v34
	v_fmac_f16_e32 v59, v71, v8
	v_fma_f16 v8, v71, v104, -v60
	v_fmac_f16_e32 v61, v72, v10
	;; [unrolled: 2-line block ×4, first 2 shown]
	v_fma_f16 v11, v90, v74, -v66
	v_add_f16_e32 v36, v118, v121
	v_sub_f16_e32 v62, v18, v19
	v_add_f16_e32 v60, v42, v18
	v_add_f16_e32 v18, v18, v19
	;; [unrolled: 1-line block ×9, first 2 shown]
	v_fma_f16 v14, v107, v67, -v122
	v_fma_f16 v12, v108, v68, -v123
	v_add_f16_e32 v34, v2, v118
	v_sub_f16_e32 v64, v118, v121
	v_add_f16_e32 v67, v86, v87
	v_sub_f16_e32 v68, v82, v84
	v_sub_f16_e32 v71, v86, v87
	;; [unrolled: 1-line block ×3, first 2 shown]
	v_add_f16_e32 v82, v44, v27
	v_add_f16_e32 v27, v27, v28
	v_sub_f16_e32 v86, v88, v89
	v_add_f16_e32 v88, v6, v112
	v_add_f16_e32 v90, v112, v113
	v_fmac_f16_e32 v42, -0.5, v18
	v_add_f16_e32 v18, v66, v87
	v_add_f16_e32 v66, v69, v84
	v_fmac_f16_e32 v43, -0.5, v70
	v_add_f16_e32 v69, v72, v89
	v_fmac_f16_e32 v5, -0.5, v73
	v_fma_f16 v2, -0.5, v36, v2
	v_add_f16_e32 v70, v49, v50
	v_sub_f16_e32 v72, v13, v15
	v_fmac_f16_e32 v45, -0.5, v29
	v_add_f16_e32 v29, v41, v13
	v_add_f16_e32 v13, v13, v15
	;; [unrolled: 1-line block ×3, first 2 shown]
	v_fmac_f16_e32 v7, -0.5, v95
	v_sub_f16_e32 v94, v9, v11
	v_add_f16_e32 v95, v39, v9
	v_add_f16_e32 v9, v9, v11
	;; [unrolled: 1-line block ×3, first 2 shown]
	v_sub_f16_e32 v87, v8, v10
	v_fmac_f16_e32 v46, -0.5, v16
	v_add_f16_e32 v16, v40, v8
	v_add_f16_e32 v8, v8, v10
	;; [unrolled: 1-line block ×8, first 2 shown]
	v_fmac_f16_e32 v44, -0.5, v27
	v_add_f16_e32 v27, v3, v49
	v_add_f16_e32 v36, v88, v113
	v_sub_f16_e32 v49, v49, v50
	v_add_f16_e32 v89, v1, v63
	v_sub_f16_e32 v63, v63, v65
	v_fma_f16 v4, -0.5, v67, v4
	v_fma_f16 v6, -0.5, v90, v6
	v_fmamk_f16 v67, v62, 0xbaee, v2
	v_fmamk_f16 v90, v64, 0x3aee, v42
	v_fmac_f16_e32 v3, -0.5, v70
	v_fmac_f16_e32 v41, -0.5, v13
	;; [unrolled: 1-line block ×3, first 2 shown]
	v_fmac_f16_e32 v2, 0x3aee, v62
	v_fmac_f16_e32 v42, 0xbaee, v64
	v_add_f16_e32 v28, v82, v28
	v_add_f16_e32 v82, v0, v59
	v_sub_f16_e32 v88, v59, v61
	v_fma_f16 v0, -0.5, v84, v0
	v_fmac_f16_e32 v40, -0.5, v8
	v_fmac_f16_e32 v1, -0.5, v92
	v_sub_f16_e32 v93, v112, v113
	v_sub_f16_e32 v98, v114, v115
	;; [unrolled: 1-line block ×4, first 2 shown]
	v_fma_f16 v59, -0.5, v99, v31
	v_fma_f16 v60, -0.5, v101, v32
	v_add_f16_e32 v27, v27, v50
	v_add_f16_e32 v15, v29, v15
	;; [unrolled: 1-line block ×3, first 2 shown]
	v_fmamk_f16 v16, v71, 0x3aee, v43
	v_fmac_f16_e32 v43, 0xbaee, v71
	v_pack_b32_f16 v19, v34, v19
	v_pack_b32_f16 v30, v36, v30
	v_fmamk_f16 v34, v72, 0xbaee, v3
	v_fmamk_f16 v36, v49, 0x3aee, v41
	;; [unrolled: 1-line block ×3, first 2 shown]
	v_fmac_f16_e32 v39, 0xbaee, v63
	v_pack_b32_f16 v63, v67, v90
	v_fmac_f16_e32 v3, 0x3aee, v72
	v_fmac_f16_e32 v41, 0xbaee, v49
	v_pack_b32_f16 v2, v2, v42
	v_add_f16_e32 v13, v82, v61
	v_pack_b32_f16 v18, v18, v66
	v_fmamk_f16 v49, v87, 0xbaee, v0
	v_fmamk_f16 v66, v88, 0x3aee, v40
	v_fmac_f16_e32 v0, 0x3aee, v87
	v_fmac_f16_e32 v40, 0xbaee, v88
	v_add_f16_e32 v8, v89, v65
	v_add_f16_e32 v11, v95, v11
	v_pack_b32_f16 v28, v69, v28
	v_fmamk_f16 v69, v94, 0xbaee, v1
	v_add_f16_e32 v17, v97, v17
	v_fmamk_f16 v9, v68, 0xbaee, v4
	v_fmac_f16_e32 v4, 0x3aee, v68
	v_fmamk_f16 v29, v74, 0xbaee, v5
	v_fmac_f16_e32 v5, 0x3aee, v74
	;; [unrolled: 2-line block ×9, first 2 shown]
	v_fmac_f16_e32 v1, 0x3aee, v94
	v_pack_b32_f16 v15, v27, v15
	ds_write2_b32 v78, v19, v63 offset1:10
	ds_write_b32 v78, v2 offset:80
	v_pack_b32_f16 v2, v34, v36
	v_pack_b32_f16 v3, v3, v41
	;; [unrolled: 1-line block ×17, first 2 shown]
	ds_write2_b32 v81, v15, v2 offset1:10
	ds_write_b32 v81, v3 offset:80
	ds_write2_b32 v83, v10, v19 offset1:10
	ds_write_b32 v83, v0 offset:80
	;; [unrolled: 2-line block ×7, first 2 shown]
	s_and_saveexec_b32 s1, s0
	s_cbranch_execz .LBB0_27
; %bb.26:
	v_add_f16_e32 v0, v32, v14
	v_mul_lo_u16 v1, v37, 30
	v_add_f16_e32 v2, v31, v47
	v_lshlrev_b32_sdwa v3, v79, v38 dst_sel:DWORD dst_unused:UNUSED_PAD src0_sel:DWORD src1_sel:WORD_0
	v_perm_b32 v4, v62, v61, 0x5040100
	v_add_f16_e32 v0, v0, v12
	v_lshlrev_b32_sdwa v1, v79, v1 dst_sel:DWORD dst_unused:UNUSED_PAD src0_sel:DWORD src1_sel:WORD_0
	v_add_f16_e32 v2, v2, v48
	v_add3_u32 v1, 0, v3, v1
	v_pack_b32_f16 v0, v2, v0
	v_perm_b32 v2, v60, v59, 0x5040100
	ds_write2_b32 v1, v0, v4 offset1:10
	ds_write_b32 v1, v2 offset:80
.LBB0_27:
	s_or_b32 exec_lo, exec_lo, s1
	v_mul_lo_u16 v0, 0x89, v33
	v_mov_b32_e32 v9, 0x8889
	v_mov_b32_e32 v8, 4
	s_waitcnt lgkmcnt(0)
	s_barrier
	v_lshrrev_b16 v63, 12, v0
	v_mul_lo_u16 v0, 0x89, v35
	v_mul_u32_u24_sdwa v10, v53, v9 dst_sel:DWORD dst_unused:UNUSED_PAD src0_sel:WORD_0 src1_sel:DWORD
	buffer_gl0_inv
	v_add_nc_u32_e32 v27, 0x1200, v51
	v_mul_lo_u16 v1, v63, 30
	v_lshrrev_b16 v64, 12, v0
	v_lshrrev_b32_e32 v65, 20, v10
	v_mul_u32_u24_sdwa v10, v52, v9 dst_sel:DWORD dst_unused:UNUSED_PAD src0_sel:WORD_0 src1_sel:DWORD
	v_mul_u32_u24_sdwa v9, v23, v9 dst_sel:DWORD dst_unused:UNUSED_PAD src0_sel:WORD_0 src1_sel:DWORD
	v_sub_nc_u16 v78, v22, v1
	v_mul_lo_u16 v0, v64, 30
	v_mul_lo_u16 v11, v65, 30
	v_lshrrev_b32_e32 v71, 20, v10
	v_lshrrev_b32_e32 v76, 20, v9
	v_lshlrev_b32_sdwa v1, v8, v78 dst_sel:DWORD dst_unused:UNUSED_PAD src0_sel:DWORD src1_sel:BYTE_0
	v_sub_nc_u16 v80, v54, v0
	v_sub_nc_u16 v82, v53, v11
	v_mul_lo_u16 v10, v71, 30
	v_mul_lo_u16 v9, v76, 30
	global_load_dwordx4 v[0:3], v1, s[12:13] offset:80
	v_lshlrev_b32_sdwa v4, v8, v80 dst_sel:DWORD dst_unused:UNUSED_PAD src0_sel:DWORD src1_sel:BYTE_0
	v_lshlrev_b32_sdwa v11, v8, v82 dst_sel:DWORD dst_unused:UNUSED_PAD src0_sel:DWORD src1_sel:WORD_0
	v_sub_nc_u16 v108, v52, v10
	v_sub_nc_u16 v109, v23, v9
	v_add_nc_u32_e32 v68, 0x1c00, v51
	s_clause 0x1
	global_load_dwordx4 v[4:7], v4, s[12:13] offset:80
	global_load_dwordx4 v[12:15], v11, s[12:13] offset:80
	v_lshlrev_b32_sdwa v10, v8, v108 dst_sel:DWORD dst_unused:UNUSED_PAD src0_sel:DWORD src1_sel:WORD_0
	v_lshlrev_b32_sdwa v8, v8, v109 dst_sel:DWORD dst_unused:UNUSED_PAD src0_sel:DWORD src1_sel:WORD_0
	v_add_nc_u32_e32 v74, 0x200, v51
	v_add_nc_u32_e32 v73, 0x1000, v51
	;; [unrolled: 1-line block ×3, first 2 shown]
	s_clause 0x1
	global_load_dwordx4 v[16:19], v10, s[12:13] offset:80
	global_load_dwordx4 v[8:11], v8, s[12:13] offset:80
	v_add_nc_u32_e32 v66, 0x800, v51
	v_add_nc_u32_e32 v77, 0xa00, v51
	;; [unrolled: 1-line block ×6, first 2 shown]
	ds_read2_b32 v[31:32], v51 offset1:90
	ds_read_b32 v87, v51 offset:8640
	ds_read2_b32 v[33:34], v27 offset0:108 offset1:198
	ds_read2_b32 v[47:48], v68 offset0:8 offset1:98
	ds_read2_b32 v[43:44], v66 offset0:28 offset1:118
	ds_read2_b32 v[49:50], v72 offset0:132 offset1:222
	ds_read2_b32 v[45:46], v67 offset0:160 offset1:250
	ds_read2_b32 v[29:30], v74 offset0:52 offset1:142
	ds_read2_b32 v[41:42], v73 offset0:56 offset1:146
	ds_read2_b32 v[39:40], v70 offset0:60 offset1:150
	ds_read2_b32 v[37:38], v77 offset0:80 offset1:170
	ds_read2_b32 v[27:28], v69 offset0:104 offset1:194
	ds_read2_b32 v[35:36], v75 offset0:84 offset1:174
	v_lshlrev_b32_sdwa v86, v79, v78 dst_sel:DWORD dst_unused:UNUSED_PAD src0_sel:DWORD src1_sel:BYTE_0
	v_lshlrev_b32_sdwa v83, v79, v80 dst_sel:DWORD dst_unused:UNUSED_PAD src0_sel:DWORD src1_sel:BYTE_0
	v_lshlrev_b32_sdwa v85, v79, v82 dst_sel:DWORD dst_unused:UNUSED_PAD src0_sel:DWORD src1_sel:WORD_0
	v_lshlrev_b32_sdwa v82, v79, v108 dst_sel:DWORD dst_unused:UNUSED_PAD src0_sel:DWORD src1_sel:WORD_0
	;; [unrolled: 1-line block ×3, first 2 shown]
	s_waitcnt vmcnt(0) lgkmcnt(0)
	s_barrier
	buffer_gl0_inv
	v_lshrrev_b32_e32 v104, 16, v34
	v_lshrrev_b32_e32 v105, 16, v47
	;; [unrolled: 1-line block ×25, first 2 shown]
	v_mul_f16_sdwa v109, v0, v28 dst_sel:DWORD dst_unused:UNUSED_PAD src0_sel:WORD_1 src1_sel:DWORD
	v_mul_f16_sdwa v110, v0, v106 dst_sel:DWORD dst_unused:UNUSED_PAD src0_sel:WORD_1 src1_sel:DWORD
	;; [unrolled: 1-line block ×4, first 2 shown]
	v_mul_f16_sdwa v113, v34, v2 dst_sel:DWORD dst_unused:UNUSED_PAD src0_sel:DWORD src1_sel:WORD_1
	v_mul_f16_sdwa v114, v47, v3 dst_sel:DWORD dst_unused:UNUSED_PAD src0_sel:DWORD src1_sel:WORD_1
	;; [unrolled: 1-line block ×12, first 2 shown]
	v_fma_f16 v106, v0, v106, -v109
	v_fma_f16 v107, v1, v107, -v111
	;; [unrolled: 1-line block ×4, first 2 shown]
	v_fmac_f16_e32 v110, v0, v28
	v_fmac_f16_e32 v112, v1, v49
	;; [unrolled: 1-line block ×5, first 2 shown]
	v_fma_f16 v0, v103, v4, -v119
	v_fmac_f16_e32 v118, v43, v4
	v_fma_f16 v1, v102, v5, -v120
	v_fmac_f16_e32 v121, v45, v6
	;; [unrolled: 2-line block ×3, first 2 shown]
	v_fma_f16 v3, v100, v7, -v124
	v_mul_f16_sdwa v4, v96, v12 dst_sel:DWORD dst_unused:UNUSED_PAD src0_sel:DWORD src1_sel:WORD_1
	v_mul_f16_sdwa v5, v44, v12 dst_sel:DWORD dst_unused:UNUSED_PAD src0_sel:DWORD src1_sel:WORD_1
	;; [unrolled: 1-line block ×24, first 2 shown]
	v_fmac_f16_e32 v4, v44, v12
	v_fmac_f16_e32 v28, v46, v14
	v_fma_f16 v5, v96, v12, -v5
	v_fma_f16 v7, v97, v13, -v7
	;; [unrolled: 1-line block ×4, first 2 shown]
	v_fmac_f16_e32 v6, v41, v13
	v_fmac_f16_e32 v43, v39, v15
	;; [unrolled: 1-line block ×3, first 2 shown]
	v_fma_f16 v13, v95, v16, -v48
	v_fmac_f16_e32 v47, v37, v16
	v_fma_f16 v15, v94, v17, -v50
	v_fmac_f16_e32 v100, v35, v18
	;; [unrolled: 2-line block ×7, first 2 shown]
	v_fma_f16 v11, v88, v11, -v124
	v_add_f16_e32 v18, v31, v110
	v_add_f16_e32 v19, v112, v115
	v_sub_f16_e32 v34, v110, v112
	v_sub_f16_e32 v35, v116, v115
	;; [unrolled: 1-line block ×4, first 2 shown]
	v_add_f16_e32 v38, v84, v106
	v_add_f16_e32 v39, v107, v104
	v_sub_f16_e32 v41, v106, v107
	v_sub_f16_e32 v42, v105, v104
	v_add_f16_e32 v44, v106, v105
	v_sub_f16_e32 v45, v107, v106
	v_sub_f16_e32 v46, v104, v105
	v_add_f16_e32 v48, v32, v118
	v_add_f16_e32 v50, v117, v121
	v_sub_f16_e32 v88, v118, v117
	v_sub_f16_e32 v89, v123, v121
	v_add_f16_e32 v90, v118, v123
	v_sub_f16_e32 v91, v117, v118
	v_sub_f16_e32 v92, v121, v123
	;; [unrolled: 7-line block ×3, first 2 shown]
	v_sub_f16_e32 v87, v1, v2
	v_sub_f16_e32 v95, v117, v121
	v_add_f16_e32 v98, v0, v3
	v_sub_f16_e32 v99, v1, v0
	v_sub_f16_e32 v101, v2, v3
	;; [unrolled: 1-line block ×4, first 2 shown]
	v_add_f16_e32 v18, v18, v112
	v_add_f16_e32 v34, v34, v35
	v_add_f16_e32 v35, v36, v37
	v_add_f16_e32 v36, v38, v107
	v_add_f16_e32 v37, v41, v42
	v_fma_f16 v38, -0.5, v39, v84
	v_fmac_f16_e32 v84, -0.5, v44
	v_add_f16_e32 v39, v45, v46
	v_add_f16_e32 v41, v48, v117
	v_fma_f16 v42, -0.5, v50, v32
	v_add_f16_e32 v44, v88, v89
	v_fmac_f16_e32 v32, -0.5, v90
	v_add_f16_e32 v45, v91, v92
	v_add_f16_e32 v1, v93, v1
	v_fma_f16 v46, -0.5, v94, v81
	v_add_f16_e32 v48, v96, v97
	v_sub_f16_e32 v88, v4, v6
	v_sub_f16_e32 v89, v43, v28
	;; [unrolled: 1-line block ×4, first 2 shown]
	v_add_f16_e32 v92, v80, v5
	v_add_f16_e32 v93, v7, v12
	v_sub_f16_e32 v94, v5, v7
	v_sub_f16_e32 v96, v14, v12
	v_add_f16_e32 v97, v5, v14
	v_sub_f16_e32 v107, v47, v49
	v_sub_f16_e32 v112, v102, v100
	;; [unrolled: 1-line block ×4, first 2 shown]
	v_add_f16_e32 v120, v30, v47
	v_fma_f16 v19, -0.5, v19, v31
	v_fma_f16 v31, -0.5, v103, v31
	v_add_f16_e32 v103, v29, v4
	v_sub_f16_e32 v106, v106, v105
	v_sub_f16_e32 v0, v0, v3
	v_fmac_f16_e32 v81, -0.5, v98
	v_add_f16_e32 v50, v99, v101
	v_sub_f16_e32 v98, v7, v5
	v_sub_f16_e32 v99, v12, v14
	v_add_f16_e32 v101, v49, v100
	v_add_f16_e32 v114, v47, v102
	;; [unrolled: 1-line block ×4, first 2 shown]
	v_sub_f16_e32 v130, v6, v28
	v_sub_f16_e32 v131, v7, v12
	v_add_f16_e32 v132, v4, v43
	v_sub_f16_e32 v133, v49, v100
	v_add_f16_e32 v41, v41, v121
	v_add_f16_e32 v1, v1, v2
	;; [unrolled: 1-line block ×5, first 2 shown]
	v_fma_f16 v90, -0.5, v93, v80
	v_fmac_f16_e32 v80, -0.5, v97
	v_add_f16_e32 v93, v107, v112
	v_add_f16_e32 v96, v117, v118
	v_fmamk_f16 v107, v110, 0x3b9c, v38
	v_fmac_f16_e32 v38, 0xbb9c, v110
	v_fmamk_f16 v117, v87, 0x3b9c, v32
	v_fmac_f16_e32 v32, 0xbb9c, v87
	v_add_f16_e32 v6, v103, v6
	v_add_f16_e32 v7, v92, v7
	;; [unrolled: 1-line block ×3, first 2 shown]
	v_sub_f16_e32 v5, v5, v14
	v_sub_f16_e32 v4, v4, v43
	v_add_f16_e32 v91, v98, v99
	v_fma_f16 v94, -0.5, v101, v30
	v_fmac_f16_e32 v30, -0.5, v114
	v_fmamk_f16 v99, v106, 0xbb9c, v19
	v_fmac_f16_e32 v19, 0x3b9c, v106
	v_fmamk_f16 v112, v40, 0xbb9c, v84
	v_fmac_f16_e32 v84, 0x3b9c, v40
	;; [unrolled: 2-line block ×3, first 2 shown]
	v_fma_f16 v92, -0.5, v129, v29
	v_fma_f16 v29, -0.5, v132, v29
	v_add_f16_e32 v103, v128, v15
	v_fmac_f16_e32 v107, 0x38b4, v40
	v_fmac_f16_e32 v38, 0xb8b4, v40
	v_add_f16_e32 v40, v41, v123
	v_fmac_f16_e32 v117, 0xb8b4, v0
	v_fmac_f16_e32 v32, 0x38b4, v0
	v_add_f16_e32 v0, v1, v3
	v_add_f16_e32 v1, v6, v28
	;; [unrolled: 1-line block ×4, first 2 shown]
	v_fmamk_f16 v41, v130, 0xbb9c, v80
	v_fmac_f16_e32 v80, 0x3b9c, v130
	v_sub_f16_e32 v124, v13, v15
	v_add_f16_e32 v126, v15, v16
	v_add_f16_e32 v127, v13, v17
	;; [unrolled: 1-line block ×3, first 2 shown]
	v_sub_f16_e32 v115, v13, v17
	v_fmamk_f16 v101, v33, 0x3b9c, v31
	v_fmac_f16_e32 v31, 0xbb9c, v33
	v_fmac_f16_e32 v99, 0xb8b4, v33
	;; [unrolled: 1-line block ×3, first 2 shown]
	v_fmamk_f16 v7, v5, 0xbb9c, v92
	v_fmac_f16_e32 v92, 0x3b9c, v5
	v_fmamk_f16 v12, v131, 0x3b9c, v29
	v_fmac_f16_e32 v29, 0xbb9c, v131
	;; [unrolled: 2-line block ×3, first 2 shown]
	v_add_f16_e32 v33, v103, v16
	v_add_f16_e32 v3, v3, v14
	v_fmac_f16_e32 v41, 0x38b4, v4
	v_fmac_f16_e32 v80, 0xb8b4, v4
	v_add_f16_e32 v4, v6, v102
	v_sub_f16_e32 v6, v15, v13
	v_sub_f16_e32 v13, v16, v17
	v_add_f16_e32 v14, v113, v119
	v_fma_f16 v98, -0.5, v126, v78
	v_fmac_f16_e32 v78, -0.5, v127
	v_fmac_f16_e32 v101, 0xb8b4, v106
	v_fmac_f16_e32 v31, 0x38b4, v106
	;; [unrolled: 1-line block ×6, first 2 shown]
	v_add_f16_e32 v5, v33, v17
	v_add_f16_e32 v6, v6, v13
	;; [unrolled: 1-line block ×3, first 2 shown]
	v_fma_f16 v33, -0.5, v14, v27
	v_sub_f16_e32 v14, v8, v11
	v_sub_f16_e32 v125, v17, v16
	v_add_f16_e32 v36, v36, v104
	v_sub_f16_e32 v104, v15, v16
	v_sub_f16_e32 v47, v47, v102
	v_fmac_f16_e32 v99, 0x34f2, v34
	v_fmac_f16_e32 v19, 0x34f2, v34
	;; [unrolled: 1-line block ×6, first 2 shown]
	v_fmamk_f16 v2, v133, 0xbb9c, v78
	v_fmac_f16_e32 v78, 0x3b9c, v133
	v_add_f16_e32 v13, v13, v113
	v_fmamk_f16 v15, v14, 0xbb9c, v33
	v_sub_f16_e32 v16, v9, v10
	v_sub_f16_e32 v17, v109, v113
	;; [unrolled: 1-line block ×3, first 2 shown]
	v_add_f16_e32 v35, v109, v122
	v_fmac_f16_e32 v33, 0x3b9c, v14
	v_fmac_f16_e32 v112, 0x38b4, v110
	;; [unrolled: 1-line block ×5, first 2 shown]
	v_add_f16_e32 v13, v13, v119
	v_fmac_f16_e32 v15, 0xb8b4, v16
	v_add_f16_e32 v17, v17, v34
	v_fmac_f16_e32 v27, -0.5, v35
	v_fmac_f16_e32 v33, 0x38b4, v16
	v_fmac_f16_e32 v107, 0x34f2, v37
	;; [unrolled: 1-line block ×7, first 2 shown]
	v_add_f16_e32 v6, v13, v122
	v_fmac_f16_e32 v15, 0x34f2, v17
	v_fmamk_f16 v13, v16, 0x3b9c, v27
	v_sub_f16_e32 v34, v113, v109
	v_sub_f16_e32 v35, v119, v122
	v_add_f16_e32 v37, v108, v8
	v_add_f16_e32 v39, v9, v10
	v_fmac_f16_e32 v27, 0xbb9c, v16
	v_fmac_f16_e32 v33, 0x34f2, v17
	v_add_f16_e32 v17, v8, v11
	v_fmac_f16_e32 v114, 0xb8b4, v87
	v_fmac_f16_e32 v42, 0x38b4, v87
	;; [unrolled: 1-line block ×3, first 2 shown]
	v_add_f16_e32 v35, v34, v35
	v_add_f16_e32 v16, v37, v9
	v_fma_f16 v34, -0.5, v39, v108
	v_fmac_f16_e32 v27, 0x38b4, v14
	v_sub_f16_e32 v39, v113, v119
	v_fmac_f16_e32 v108, -0.5, v17
	v_sub_f16_e32 v37, v109, v122
	v_fmac_f16_e32 v114, 0x34f2, v44
	v_fmac_f16_e32 v42, 0x34f2, v44
	v_add_f16_e32 v1, v1, v43
	v_fmac_f16_e32 v13, 0x34f2, v35
	v_add_f16_e32 v14, v16, v10
	v_sub_f16_e32 v43, v8, v9
	v_sub_f16_e32 v44, v11, v10
	v_fmac_f16_e32 v27, 0x34f2, v35
	v_fmamk_f16 v35, v39, 0xbb9c, v108
	v_sub_f16_e32 v8, v9, v8
	v_sub_f16_e32 v9, v10, v11
	v_fmac_f16_e32 v108, 0x3b9c, v39
	v_mov_b32_e32 v10, 0x258
	v_fmamk_f16 v118, v111, 0x3b9c, v46
	v_fmamk_f16 v16, v37, 0x3b9c, v34
	v_fmac_f16_e32 v34, 0xbb9c, v37
	v_fmamk_f16 v121, v95, 0xbb9c, v81
	v_fmac_f16_e32 v81, 0x3b9c, v95
	v_fmac_f16_e32 v46, 0xbb9c, v111
	v_add_f16_e32 v18, v18, v116
	v_add_f16_e32 v36, v36, v105
	v_fmac_f16_e32 v35, 0x38b4, v37
	v_add_f16_e32 v8, v8, v9
	v_fmac_f16_e32 v108, 0xb8b4, v37
	v_mul_u32_u24_sdwa v9, v63, v10 dst_sel:DWORD dst_unused:UNUSED_PAD src0_sel:WORD_0 src1_sel:DWORD
	v_fmac_f16_e32 v118, 0x38b4, v95
	v_fmac_f16_e32 v16, 0x38b4, v39
	v_add_f16_e32 v17, v43, v44
	v_fmac_f16_e32 v34, 0xb8b4, v39
	v_fmac_f16_e32 v121, 0x38b4, v111
	;; [unrolled: 1-line block ×4, first 2 shown]
	v_fmamk_f16 v49, v115, 0xbb9c, v94
	v_fmamk_f16 v95, v47, 0x3b9c, v98
	v_fmac_f16_e32 v28, 0x38b4, v130
	v_add_f16_e32 v14, v14, v11
	v_fmac_f16_e32 v35, 0x34f2, v8
	v_fmac_f16_e32 v108, 0x34f2, v8
	v_add3_u32 v8, 0, v9, v86
	v_pack_b32_f16 v9, v18, v36
	v_pack_b32_f16 v11, v99, v107
	v_fmac_f16_e32 v118, 0x34f2, v48
	v_fmac_f16_e32 v16, 0x34f2, v17
	;; [unrolled: 1-line block ×3, first 2 shown]
	v_pack_b32_f16 v17, v101, v112
	v_pack_b32_f16 v18, v31, v84
	v_mul_u32_u24_sdwa v10, v64, v10 dst_sel:DWORD dst_unused:UNUSED_PAD src0_sel:WORD_0 src1_sel:DWORD
	v_fmac_f16_e32 v117, 0x34f2, v45
	v_fmac_f16_e32 v32, 0x34f2, v45
	;; [unrolled: 1-line block ×5, first 2 shown]
	v_fmamk_f16 v87, v104, 0x3b9c, v30
	v_fmac_f16_e32 v30, 0xbb9c, v104
	v_fmac_f16_e32 v46, 0x34f2, v48
	v_add_f16_e32 v97, v124, v125
	v_fmac_f16_e32 v94, 0x3b9c, v115
	v_fmac_f16_e32 v98, 0xbb9c, v47
	;; [unrolled: 1-line block ×5, first 2 shown]
	ds_write2_b32 v8, v9, v11 offset1:30
	ds_write2_b32 v8, v17, v18 offset0:60 offset1:90
	v_pack_b32_f16 v9, v19, v38
	v_mul_u32_u24_e32 v31, 0x258, v65
	v_fmac_f16_e32 v12, 0x34f2, v88
	v_fmac_f16_e32 v29, 0x34f2, v88
	;; [unrolled: 1-line block ×4, first 2 shown]
	v_add3_u32 v10, 0, v10, v83
	v_pack_b32_f16 v0, v40, v0
	v_pack_b32_f16 v11, v114, v118
	v_fmac_f16_e32 v90, 0x34f2, v89
	v_pack_b32_f16 v17, v117, v121
	v_pack_b32_f16 v18, v32, v81
	v_fmac_f16_e32 v87, 0xb8b4, v115
	v_fmac_f16_e32 v30, 0x38b4, v115
	v_pack_b32_f16 v19, v42, v46
	v_fmac_f16_e32 v94, 0x38b4, v104
	v_fmac_f16_e32 v49, 0x34f2, v93
	;; [unrolled: 1-line block ×4, first 2 shown]
	v_pack_b32_f16 v1, v1, v3
	v_mul_u32_u24_e32 v3, 0x258, v71
	ds_write_b32 v8, v9 offset:480
	ds_write2_b32 v10, v0, v11 offset1:30
	ds_write2_b32 v10, v17, v18 offset0:60 offset1:90
	ds_write_b32 v10, v19 offset:480
	v_add3_u32 v0, 0, v31, v85
	v_pack_b32_f16 v7, v7, v28
	v_pack_b32_f16 v8, v12, v41
	;; [unrolled: 1-line block ×4, first 2 shown]
	v_fmac_f16_e32 v87, 0x34f2, v96
	v_fmac_f16_e32 v30, 0x34f2, v96
	;; [unrolled: 1-line block ×4, first 2 shown]
	v_add3_u32 v3, 0, v3, v82
	v_pack_b32_f16 v4, v4, v5
	v_pack_b32_f16 v5, v49, v95
	ds_write2_b32 v0, v1, v7 offset1:30
	ds_write2_b32 v0, v8, v9 offset0:60 offset1:90
	ds_write_b32 v0, v10 offset:480
	v_mul_u32_u24_e32 v0, 0x258, v76
	v_pack_b32_f16 v1, v87, v2
	v_pack_b32_f16 v2, v30, v78
	ds_write2_b32 v3, v4, v5 offset1:30
	v_pack_b32_f16 v4, v94, v98
	v_add3_u32 v0, 0, v0, v79
	v_pack_b32_f16 v5, v6, v14
	v_pack_b32_f16 v6, v15, v16
	;; [unrolled: 1-line block ×5, first 2 shown]
	ds_write2_b32 v3, v1, v2 offset0:60 offset1:90
	ds_write_b32 v3, v4 offset:480
	ds_write2_b32 v0, v5, v6 offset1:30
	ds_write2_b32 v0, v7, v8 offset0:60 offset1:90
	ds_write_b32 v0, v9 offset:480
	v_add_nc_u32_e32 v0, 0x1600, v51
	s_waitcnt lgkmcnt(0)
	s_barrier
	buffer_gl0_inv
	ds_read2_b32 v[8:9], v51 offset1:90
	ds_read2_b32 v[31:32], v77 offset0:110 offset1:200
	ds_read2_b32 v[29:30], v0 offset0:92 offset1:182
	;; [unrolled: 1-line block ×11, first 2 shown]
	s_and_saveexec_b32 s1, s0
	s_cbranch_execz .LBB0_29
; %bb.28:
	ds_read_b32 v33, v51 offset:2880
	ds_read_b32 v61, v51 offset:5880
	;; [unrolled: 1-line block ×3, first 2 shown]
	s_waitcnt lgkmcnt(2)
	v_lshrrev_b32_e32 v34, 16, v33
	s_waitcnt lgkmcnt(1)
	v_lshrrev_b32_e32 v62, 16, v61
	;; [unrolled: 2-line block ×3, first 2 shown]
.LBB0_29:
	s_or_b32 exec_lo, exec_lo, s1
	v_subrev_nc_u32_e32 v35, 60, v22
	v_cmp_gt_u32_e64 s1, 60, v22
	v_lshlrev_b32_e32 v0, 1, v22
	v_mov_b32_e32 v1, 0
	v_lshrrev_b16 v40, 1, v52
	v_lshrrev_b16 v43, 1, v23
	v_cndmask_b32_e64 v50, v35, v54, s1
	v_mov_b32_e32 v35, 0xda75
	v_lshlrev_b64 v[36:37], 2, v[0:1]
	v_add_nc_u32_e32 v0, 60, v0
	v_mov_b32_e32 v39, v1
	v_lshlrev_b32_e32 v38, 1, v50
	v_mul_u32_u24_sdwa v42, v40, v35 dst_sel:DWORD dst_unused:UNUSED_PAD src0_sel:WORD_0 src1_sel:DWORD
	v_mov_b32_e32 v46, 3
	v_lshlrev_b64 v[40:41], 2, v[0:1]
	v_add_co_u32 v36, s1, s12, v36
	v_lshrrev_b32_e32 v0, 22, v42
	v_lshlrev_b64 v[38:39], 2, v[38:39]
	v_add_co_ci_u32_e64 v37, s1, s13, v37, s1
	v_lshrrev_b16 v48, 1, v57
	v_mul_lo_u16 v42, 0x96, v0
	s_waitcnt lgkmcnt(10)
	v_lshrrev_b32_e32 v85, 16, v31
	v_add_co_u32 v38, s1, s12, v38
	v_add_co_ci_u32_e64 v39, s1, s13, v39, s1
	v_sub_nc_u16 v63, v52, v42
	v_add_co_u32 v40, s1, s12, v40
	v_mul_u32_u24_sdwa v42, v43, v35 dst_sel:DWORD dst_unused:UNUSED_PAD src0_sel:WORD_0 src1_sel:DWORD
	v_lshrrev_b16 v43, 1, v56
	v_add_co_ci_u32_e64 v41, s1, s13, v41, s1
	v_lshlrev_b32_sdwa v44, v46, v63 dst_sel:DWORD dst_unused:UNUSED_PAD src0_sel:DWORD src1_sel:WORD_0
	global_load_dwordx2 v[36:37], v[36:37], off offset:560
	v_mul_u32_u24_sdwa v45, v43, v35 dst_sel:DWORD dst_unused:UNUSED_PAD src0_sel:WORD_0 src1_sel:DWORD
	global_load_dwordx2 v[40:41], v[40:41], off offset:560
	v_lshrrev_b32_e32 v47, 22, v42
	global_load_dwordx2 v[42:43], v44, s[12:13] offset:560
	v_lshrrev_b16 v44, 1, v58
	v_lshrrev_b32_e32 v45, 22, v45
	v_mul_u32_u24_sdwa v48, v48, v35 dst_sel:DWORD dst_unused:UNUSED_PAD src0_sel:WORD_0 src1_sel:DWORD
	v_mul_lo_u16 v47, 0x96, v47
	global_load_dwordx2 v[38:39], v[38:39], off offset:560
	v_mul_u32_u24_sdwa v44, v44, v35 dst_sel:DWORD dst_unused:UNUSED_PAD src0_sel:WORD_0 src1_sel:DWORD
	v_mul_lo_u16 v45, 0x96, v45
	v_lshrrev_b32_e32 v64, 22, v48
	v_sub_nc_u16 v47, v23, v47
	v_cmp_lt_u32_e64 s1, 59, v22
	v_lshrrev_b32_e32 v44, 22, v44
	v_sub_nc_u16 v45, v56, v45
	s_waitcnt lgkmcnt(9)
	v_lshrrev_b32_e32 v86, 16, v29
	v_and_b32_e32 v65, 0xffff, v47
	v_mul_lo_u16 v47, 0x96, v64
	v_mul_lo_u16 v44, 0x96, v44
	v_and_b32_e32 v66, 0xffff, v45
	v_mov_b32_e32 v92, 2
	v_lshlrev_b32_e32 v45, 3, v65
	v_cndmask_b32_e64 v93, 0, 0x708, s1
	v_sub_nc_u16 v48, v58, v44
	v_sub_nc_u16 v58, v57, v47
	v_lshlrev_b32_e32 v47, 3, v66
	global_load_dwordx2 v[44:45], v45, s[12:13] offset:560
	v_lshlrev_b32_e32 v50, 2, v50
	v_and_b32_e32 v67, 0xffff, v48
	v_lshlrev_b32_sdwa v48, v46, v58 dst_sel:DWORD dst_unused:UNUSED_PAD src0_sel:DWORD src1_sel:WORD_0
	global_load_dwordx2 v[46:47], v47, s[12:13] offset:560
	v_lshlrev_b32_sdwa v63, v92, v63 dst_sel:DWORD dst_unused:UNUSED_PAD src0_sel:DWORD src1_sel:WORD_0
	v_lshlrev_b32_sdwa v58, v92, v58 dst_sel:DWORD dst_unused:UNUSED_PAD src0_sel:DWORD src1_sel:WORD_0
	v_lshlrev_b32_e32 v56, 3, v67
	s_clause 0x1
	global_load_dwordx2 v[48:49], v48, s[12:13] offset:560
	global_load_dwordx2 v[56:57], v56, s[12:13] offset:560
	v_add3_u32 v50, 0, v93, v50
	v_lshrrev_b32_e32 v68, 16, v8
	s_waitcnt lgkmcnt(6)
	v_lshrrev_b32_e32 v72, 16, v28
	v_lshrrev_b32_e32 v87, 16, v32
	;; [unrolled: 1-line block ×6, first 2 shown]
	s_waitcnt lgkmcnt(4)
	v_lshrrev_b32_e32 v74, 16, v12
	s_waitcnt lgkmcnt(3)
	v_lshrrev_b32_e32 v75, 16, v16
	v_lshrrev_b32_e32 v77, 16, v13
	;; [unrolled: 1-line block ×3, first 2 shown]
	s_waitcnt lgkmcnt(1)
	v_lshrrev_b32_e32 v80, 16, v10
	s_waitcnt lgkmcnt(0)
	v_lshrrev_b32_e32 v81, 16, v14
	v_lshrrev_b32_e32 v69, 16, v9
	;; [unrolled: 1-line block ×10, first 2 shown]
	v_mul_u32_u24_e32 v0, 0x708, v0
	s_waitcnt vmcnt(0)
	s_barrier
	buffer_gl0_inv
	v_mul_u32_u24_e32 v64, 0x708, v64
	v_add3_u32 v0, 0, v0, v63
	v_lshl_add_u32 v63, v65, 2, 0
	v_add_nc_u32_e32 v94, 0x600, v51
	v_lshl_add_u32 v65, v66, 2, 0
	v_add3_u32 v58, 0, v64, v58
	v_lshl_add_u32 v64, v67, 2, 0
	v_add_nc_u32_e32 v66, 0xe00, v63
	v_add_nc_u32_e32 v67, 0x1400, v65
	;; [unrolled: 1-line block ×3, first 2 shown]
	v_mul_f16_sdwa v92, v36, v85 dst_sel:DWORD dst_unused:UNUSED_PAD src0_sel:WORD_1 src1_sel:DWORD
	v_mul_f16_sdwa v93, v36, v31 dst_sel:DWORD dst_unused:UNUSED_PAD src0_sel:WORD_1 src1_sel:DWORD
	;; [unrolled: 1-line block ×5, first 2 shown]
	v_fmac_f16_e32 v92, v36, v31
	v_fma_f16 v31, v36, v85, -v93
	v_fmac_f16_e32 v95, v37, v29
	v_fma_f16 v29, v37, v86, -v96
	v_mul_f16_sdwa v36, v38, v87 dst_sel:DWORD dst_unused:UNUSED_PAD src0_sel:WORD_1 src1_sel:DWORD
	v_mul_f16_sdwa v37, v38, v32 dst_sel:DWORD dst_unused:UNUSED_PAD src0_sel:WORD_1 src1_sel:DWORD
	v_mul_f16_sdwa v85, v39, v88 dst_sel:DWORD dst_unused:UNUSED_PAD src0_sel:WORD_1 src1_sel:DWORD
	v_mul_f16_sdwa v86, v39, v30 dst_sel:DWORD dst_unused:UNUSED_PAD src0_sel:WORD_1 src1_sel:DWORD
	v_mul_f16_sdwa v93, v40, v89 dst_sel:DWORD dst_unused:UNUSED_PAD src0_sel:WORD_1 src1_sel:DWORD
	v_mul_f16_sdwa v96, v40, v18 dst_sel:DWORD dst_unused:UNUSED_PAD src0_sel:WORD_1 src1_sel:DWORD
	v_mul_f16_sdwa v99, v41, v27 dst_sel:DWORD dst_unused:UNUSED_PAD src0_sel:WORD_1 src1_sel:DWORD
	v_add_f16_e32 v101, v92, v95
	v_sub_f16_e32 v102, v31, v29
	v_add_f16_e32 v103, v68, v31
	v_add_f16_e32 v31, v31, v29
	v_mul_f16_sdwa v104, v42, v91 dst_sel:DWORD dst_unused:UNUSED_PAD src0_sel:WORD_1 src1_sel:DWORD
	v_mul_f16_sdwa v105, v42, v19 dst_sel:DWORD dst_unused:UNUSED_PAD src0_sel:WORD_1 src1_sel:DWORD
	v_mul_f16_sdwa v106, v72, v43 dst_sel:DWORD dst_unused:UNUSED_PAD src0_sel:DWORD src1_sel:WORD_1
	v_mul_f16_sdwa v107, v28, v43 dst_sel:DWORD dst_unused:UNUSED_PAD src0_sel:DWORD src1_sel:WORD_1
	v_add_f16_e32 v100, v8, v92
	v_fmac_f16_e32 v36, v38, v32
	v_fma_f16 v32, v38, v87, -v37
	v_fmac_f16_e32 v85, v39, v30
	v_fma_f16 v30, v39, v88, -v86
	;; [unrolled: 2-line block ×4, first 2 shown]
	v_fma_f16 v8, -0.5, v101, v8
	v_fmac_f16_e32 v68, -0.5, v31
	v_fmac_f16_e32 v104, v42, v19
	v_fma_f16 v19, v42, v91, -v105
	v_fmac_f16_e32 v106, v28, v43
	v_mul_f16_sdwa v31, v74, v44 dst_sel:DWORD dst_unused:UNUSED_PAD src0_sel:DWORD src1_sel:WORD_1
	v_mul_f16_sdwa v38, v12, v44 dst_sel:DWORD dst_unused:UNUSED_PAD src0_sel:DWORD src1_sel:WORD_1
	;; [unrolled: 1-line block ×6, first 2 shown]
	v_fma_f16 v28, v72, v43, -v107
	v_mul_f16_sdwa v43, v78, v47 dst_sel:DWORD dst_unused:UNUSED_PAD src0_sel:DWORD src1_sel:WORD_1
	v_mul_f16_sdwa v72, v17, v47 dst_sel:DWORD dst_unused:UNUSED_PAD src0_sel:DWORD src1_sel:WORD_1
	v_sub_f16_e32 v92, v92, v95
	v_mul_f16_sdwa v86, v80, v48 dst_sel:DWORD dst_unused:UNUSED_PAD src0_sel:DWORD src1_sel:WORD_1
	v_mul_f16_sdwa v87, v10, v48 dst_sel:DWORD dst_unused:UNUSED_PAD src0_sel:DWORD src1_sel:WORD_1
	;; [unrolled: 1-line block ×4, first 2 shown]
	v_add_f16_e32 v37, v100, v95
	v_add_f16_e32 v29, v103, v29
	v_mul_f16_sdwa v90, v83, v56 dst_sel:DWORD dst_unused:UNUSED_PAD src0_sel:DWORD src1_sel:WORD_1
	v_mul_f16_sdwa v91, v11, v56 dst_sel:DWORD dst_unused:UNUSED_PAD src0_sel:DWORD src1_sel:WORD_1
	;; [unrolled: 1-line block ×4, first 2 shown]
	v_fmamk_f16 v99, v102, 0xbaee, v8
	v_fmac_f16_e32 v8, 0x3aee, v102
	v_add_f16_e32 v101, v36, v85
	v_sub_f16_e32 v102, v32, v30
	v_add_f16_e32 v103, v69, v32
	v_add_f16_e32 v32, v32, v30
	;; [unrolled: 1-line block ×3, first 2 shown]
	v_sub_f16_e32 v108, v18, v27
	v_add_f16_e32 v109, v70, v18
	v_add_f16_e32 v18, v18, v27
	v_fmac_f16_e32 v31, v12, v44
	v_fma_f16 v12, v74, v44, -v38
	v_fmac_f16_e32 v39, v16, v45
	v_fma_f16 v16, v75, v45, -v40
	;; [unrolled: 2-line block ×3, first 2 shown]
	v_add_f16_e32 v38, v104, v106
	v_add_f16_e32 v42, v71, v19
	v_fmac_f16_e32 v43, v17, v47
	v_fma_f16 v17, v78, v47, -v72
	v_fmamk_f16 v100, v92, 0x3aee, v68
	v_fmac_f16_e32 v68, 0xbaee, v92
	v_add_f16_e32 v105, v6, v93
	v_fmac_f16_e32 v86, v10, v48
	v_fma_f16 v10, v80, v48, -v87
	v_fmac_f16_e32 v88, v14, v49
	v_fma_f16 v14, v81, v49, -v89
	v_sub_f16_e32 v40, v19, v28
	v_add_f16_e32 v19, v19, v28
	v_add_f16_e32 v92, v9, v36
	v_sub_f16_e32 v36, v36, v85
	v_sub_f16_e32 v93, v93, v98
	v_pack_b32_f16 v29, v37, v29
	v_fmac_f16_e32 v90, v11, v56
	v_fma_f16 v11, v83, v56, -v91
	v_fmac_f16_e32 v95, v15, v57
	v_fma_f16 v15, v84, v57, -v96
	v_add_f16_e32 v37, v7, v104
	v_fmac_f16_e32 v9, -0.5, v101
	v_fmac_f16_e32 v69, -0.5, v32
	v_fma_f16 v6, -0.5, v107, v6
	v_fmac_f16_e32 v70, -0.5, v18
	v_fmac_f16_e32 v7, -0.5, v38
	v_add_f16_e32 v28, v42, v28
	v_add_f16_e32 v38, v31, v39
	v_sub_f16_e32 v42, v12, v16
	v_add_f16_e32 v46, v73, v12
	v_add_f16_e32 v12, v12, v16
	;; [unrolled: 1-line block ×3, first 2 shown]
	v_sub_f16_e32 v49, v13, v17
	v_add_f16_e32 v56, v76, v13
	v_add_f16_e32 v13, v13, v17
	v_sub_f16_e32 v44, v104, v106
	v_add_f16_e32 v32, v105, v98
	v_add_f16_e32 v27, v109, v27
	v_pack_b32_f16 v18, v99, v100
	v_pack_b32_f16 v8, v8, v68
	v_fmac_f16_e32 v71, -0.5, v19
	v_add_f16_e32 v68, v86, v88
	v_sub_f16_e32 v72, v10, v14
	v_add_f16_e32 v74, v79, v10
	v_add_f16_e32 v10, v10, v14
	;; [unrolled: 1-line block ×6, first 2 shown]
	v_sub_f16_e32 v31, v31, v39
	v_add_f16_e32 v57, v4, v86
	v_sub_f16_e32 v75, v86, v88
	v_add_f16_e32 v78, v90, v95
	;; [unrolled: 2-line block ×3, first 2 shown]
	v_add_f16_e32 v11, v11, v15
	v_fmamk_f16 v84, v102, 0xbaee, v9
	v_fmamk_f16 v85, v36, 0x3aee, v69
	v_fmac_f16_e32 v69, 0xbaee, v36
	v_fmamk_f16 v36, v108, 0xbaee, v6
	v_fmamk_f16 v86, v93, 0x3aee, v70
	v_fma_f16 v2, -0.5, v38, v2
	v_fmac_f16_e32 v73, -0.5, v12
	v_fmac_f16_e32 v9, 0x3aee, v102
	v_add_f16_e32 v47, v3, v41
	v_sub_f16_e32 v41, v41, v43
	v_fmac_f16_e32 v3, -0.5, v48
	v_fmac_f16_e32 v76, -0.5, v13
	v_fmac_f16_e32 v6, 0x3aee, v108
	v_fmac_f16_e32 v70, 0xbaee, v93
	ds_write2_b32 v51, v29, v18 offset1:150
	ds_write_b32 v51, v8 offset:1200
	v_pack_b32_f16 v18, v32, v27
	v_fmamk_f16 v27, v40, 0xbaee, v7
	v_fmamk_f16 v29, v44, 0x3aee, v71
	v_fma_f16 v4, -0.5, v68, v4
	v_fmac_f16_e32 v79, -0.5, v10
	v_add_f16_e32 v77, v5, v90
	v_sub_f16_e32 v83, v90, v95
	v_pack_b32_f16 v8, v45, v30
	v_fmac_f16_e32 v7, 0x3aee, v40
	v_fmac_f16_e32 v71, 0xbaee, v44
	v_add_f16_e32 v19, v19, v39
	v_add_f16_e32 v16, v46, v16
	v_fmac_f16_e32 v5, -0.5, v78
	v_fmac_f16_e32 v82, -0.5, v11
	v_pack_b32_f16 v11, v37, v28
	v_pack_b32_f16 v28, v84, v85
	;; [unrolled: 1-line block ×3, first 2 shown]
	v_fmamk_f16 v32, v42, 0xbaee, v2
	v_fmamk_f16 v36, v31, 0x3aee, v73
	v_pack_b32_f16 v9, v9, v69
	v_fmac_f16_e32 v2, 0x3aee, v42
	v_fmac_f16_e32 v73, 0xbaee, v31
	v_add_f16_e32 v12, v47, v43
	v_add_f16_e32 v17, v56, v17
	v_fmamk_f16 v31, v49, 0xbaee, v3
	v_fmamk_f16 v37, v41, 0x3aee, v76
	v_pack_b32_f16 v6, v6, v70
	v_fmac_f16_e32 v3, 0x3aee, v49
	v_fmac_f16_e32 v76, 0xbaee, v41
	v_add_f16_e32 v13, v57, v88
	v_add_f16_e32 v14, v74, v14
	v_fmamk_f16 v38, v72, 0xbaee, v4
	v_fmamk_f16 v39, v75, 0x3aee, v79
	v_pack_b32_f16 v27, v27, v29
	v_add_f16_e32 v10, v77, v95
	v_add_f16_e32 v15, v81, v15
	v_fmac_f16_e32 v4, 0x3aee, v72
	v_fmac_f16_e32 v79, 0xbaee, v75
	v_fmamk_f16 v40, v80, 0xbaee, v5
	v_fmac_f16_e32 v5, 0x3aee, v80
	v_fmamk_f16 v41, v83, 0x3aee, v82
	v_fmac_f16_e32 v82, 0xbaee, v83
	v_pack_b32_f16 v7, v7, v71
	v_pack_b32_f16 v16, v19, v16
	ds_write2_b32 v50, v8, v28 offset1:150
	ds_write_b32 v50, v9 offset:1200
	ds_write2_b32 v94, v18, v30 offset0:96 offset1:246
	ds_write_b32 v51, v6 offset:3120
	ds_write2_b32 v0, v11, v27 offset1:150
	ds_write_b32 v0, v7 offset:1200
	v_pack_b32_f16 v0, v32, v36
	v_pack_b32_f16 v2, v2, v73
	;; [unrolled: 1-line block ×11, first 2 shown]
	ds_write2_b32 v66, v16, v0 offset0:4 offset1:154
	ds_write_b32 v63, v2 offset:4800
	ds_write2_b32 v67, v12, v6 offset0:70 offset1:220
	ds_write_b32 v65, v3 offset:6600
	ds_write2_b32 v58, v13, v7 offset1:150
	ds_write_b32 v58, v4 offset:1200
	ds_write2_b32 v97, v10, v8 offset0:8 offset1:158
	ds_write_b32 v64, v5 offset:8400
	s_and_saveexec_b32 s1, s0
	s_cbranch_execz .LBB0_31
; %bb.30:
	v_lshrrev_b16 v0, 1, v55
	v_mul_u32_u24_sdwa v0, v0, v35 dst_sel:DWORD dst_unused:UNUSED_PAD src0_sel:WORD_0 src1_sel:DWORD
	v_lshrrev_b32_e32 v0, 22, v0
	v_mul_lo_u16 v0, 0x96, v0
	v_sub_nc_u16 v0, v55, v0
	v_and_b32_e32 v0, 0xffff, v0
	v_lshlrev_b32_e32 v2, 3, v0
	v_lshl_add_u32 v0, v0, 2, 0
	global_load_dwordx2 v[2:3], v2, s[12:13] offset:560
	s_waitcnt vmcnt(0)
	v_mul_f16_sdwa v4, v61, v2 dst_sel:DWORD dst_unused:UNUSED_PAD src0_sel:DWORD src1_sel:WORD_1
	v_mul_f16_sdwa v5, v59, v3 dst_sel:DWORD dst_unused:UNUSED_PAD src0_sel:DWORD src1_sel:WORD_1
	;; [unrolled: 1-line block ×4, first 2 shown]
	v_fma_f16 v4, v62, v2, -v4
	v_fma_f16 v5, v60, v3, -v5
	v_fmac_f16_e32 v6, v61, v2
	v_fmac_f16_e32 v7, v59, v3
	v_add_f16_e32 v9, v34, v4
	v_add_f16_e32 v2, v4, v5
	v_sub_f16_e32 v4, v4, v5
	v_add_f16_e32 v8, v6, v7
	v_sub_f16_e32 v3, v6, v7
	v_add_f16_e32 v6, v33, v6
	v_fma_f16 v2, -0.5, v2, v34
	v_add_f16_e32 v5, v9, v5
	v_fma_f16 v8, -0.5, v8, v33
	v_add_f16_e32 v6, v6, v7
	v_fmamk_f16 v7, v3, 0xbaee, v2
	v_fmac_f16_e32 v2, 0x3aee, v3
	v_fmamk_f16 v3, v4, 0x3aee, v8
	v_fmac_f16_e32 v8, 0xbaee, v4
	v_add_nc_u32_e32 v4, 0x1c00, v0
	v_pack_b32_f16 v5, v6, v5
	v_pack_b32_f16 v3, v3, v7
	;; [unrolled: 1-line block ×3, first 2 shown]
	ds_write2_b32 v4, v5, v2 offset0:8 offset1:158
	ds_write_b32 v0, v3 offset:8400
.LBB0_31:
	s_or_b32 exec_lo, exec_lo, s1
	v_mov_b32_e32 v27, v1
	v_lshlrev_b32_e32 v0, 2, v54
	s_waitcnt lgkmcnt(0)
	s_barrier
	buffer_gl0_inv
	v_lshlrev_b64 v[2:3], 2, v[26:27]
	v_lshlrev_b64 v[4:5], 2, v[0:1]
	v_lshlrev_b32_e32 v0, 2, v53
	v_add_nc_u32_e32 v11, 0x200, v51
	v_add_nc_u32_e32 v10, 0x1000, v51
	;; [unrolled: 1-line block ×3, first 2 shown]
	v_add_co_u32 v2, s0, s12, v2
	v_add_co_ci_u32_e64 v3, s0, s13, v3, s0
	v_add_nc_u32_e32 v7, 0xa00, v51
	v_add_nc_u32_e32 v15, 0x1c00, v51
	;; [unrolled: 1-line block ×3, first 2 shown]
	global_load_dwordx4 v[27:30], v[2:3], off offset:1760
	v_add_co_u32 v2, s0, s12, v4
	v_add_co_ci_u32_e64 v3, s0, s13, v5, s0
	v_add_nc_u32_e32 v6, 0x400, v51
	v_add_nc_u32_e32 v14, 0x800, v51
	;; [unrolled: 1-line block ×3, first 2 shown]
	global_load_dwordx4 v[31:34], v[2:3], off offset:1760
	v_lshlrev_b64 v[2:3], 2, v[0:1]
	v_lshlrev_b32_e32 v0, 2, v52
	v_add_nc_u32_e32 v9, 0x1200, v51
	v_add_nc_u32_e32 v13, 0x1400, v51
	ds_read2_b32 v[4:5], v51 offset1:90
	v_add_co_u32 v2, s0, s12, v2
	v_add_co_ci_u32_e64 v3, s0, s13, v3, s0
	global_load_dwordx4 v[35:38], v[2:3], off offset:1760
	v_lshlrev_b64 v[2:3], 2, v[0:1]
	v_lshlrev_b32_e32 v0, 2, v23
	v_lshlrev_b64 v[0:1], 2, v[0:1]
	v_add_co_u32 v2, s0, s12, v2
	v_add_co_ci_u32_e64 v3, s0, s13, v3, s0
	s_waitcnt lgkmcnt(0)
	v_lshrrev_b32_e32 v26, 16, v4
	v_add_co_u32 v0, s0, s12, v0
	global_load_dwordx4 v[39:42], v[2:3], off offset:1760
	v_add_co_ci_u32_e64 v1, s0, s13, v1, s0
	v_lshrrev_b32_e32 v19, 16, v5
	global_load_dwordx4 v[43:46], v[0:1], off offset:1760
	ds_read_b32 v66, v51 offset:8640
	ds_read2_b32 v[47:48], v15 offset0:8 offset1:98
	ds_read2_b32 v[49:50], v14 offset0:28 offset1:118
	;; [unrolled: 1-line block ×11, first 2 shown]
	s_waitcnt vmcnt(0) lgkmcnt(0)
	s_barrier
	buffer_gl0_inv
	v_lshrrev_b32_e32 v67, 16, v66
	v_lshrrev_b32_e32 v68, 16, v47
	;; [unrolled: 1-line block ×23, first 2 shown]
	v_mul_f16_sdwa v87, v27, v82 dst_sel:DWORD dst_unused:UNUSED_PAD src0_sel:WORD_1 src1_sel:DWORD
	v_mul_f16_sdwa v88, v27, v3 dst_sel:DWORD dst_unused:UNUSED_PAD src0_sel:WORD_1 src1_sel:DWORD
	;; [unrolled: 1-line block ×6, first 2 shown]
	v_mul_f16_sdwa v93, v68, v30 dst_sel:DWORD dst_unused:UNUSED_PAD src0_sel:DWORD src1_sel:WORD_1
	v_mul_f16_sdwa v94, v47, v30 dst_sel:DWORD dst_unused:UNUSED_PAD src0_sel:DWORD src1_sel:WORD_1
	;; [unrolled: 1-line block ×10, first 2 shown]
	v_fmac_f16_e32 v87, v27, v3
	v_fma_f16 v3, v27, v82, -v88
	v_fmac_f16_e32 v89, v28, v52
	v_fma_f16 v27, v28, v84, -v90
	v_fmac_f16_e32 v91, v29, v65
	v_fma_f16 v28, v29, v86, -v92
	v_fmac_f16_e32 v93, v47, v30
	v_fma_f16 v29, v68, v30, -v94
	v_fmac_f16_e32 v95, v49, v31
	v_fma_f16 v30, v69, v31, -v96
	v_fmac_f16_e32 v97, v53, v32
	v_fma_f16 v31, v70, v32, -v98
	v_fmac_f16_e32 v99, v54, v33
	v_fma_f16 v32, v71, v33, -v100
	v_fmac_f16_e32 v101, v48, v34
	v_fma_f16 v33, v72, v34, -v102
	v_mul_f16_sdwa v34, v73, v35 dst_sel:DWORD dst_unused:UNUSED_PAD src0_sel:DWORD src1_sel:WORD_1
	v_mul_f16_sdwa v47, v50, v35 dst_sel:DWORD dst_unused:UNUSED_PAD src0_sel:DWORD src1_sel:WORD_1
	;; [unrolled: 1-line block ×8, first 2 shown]
	v_fmac_f16_e32 v34, v50, v35
	v_fma_f16 v35, v73, v35, -v47
	v_fmac_f16_e32 v48, v56, v36
	v_fma_f16 v36, v74, v36, -v49
	v_fmac_f16_e32 v52, v55, v37
	v_fma_f16 v37, v75, v37, -v53
	v_fmac_f16_e32 v54, v58, v38
	v_fma_f16 v38, v76, v38, -v65
	v_mul_f16_sdwa v47, v77, v39 dst_sel:DWORD dst_unused:UNUSED_PAD src0_sel:DWORD src1_sel:WORD_1
	v_mul_f16_sdwa v49, v60, v39 dst_sel:DWORD dst_unused:UNUSED_PAD src0_sel:DWORD src1_sel:WORD_1
	;; [unrolled: 1-line block ×8, first 2 shown]
	v_add_f16_e32 v69, v89, v91
	v_sub_f16_e32 v72, v87, v89
	v_sub_f16_e32 v73, v93, v91
	v_add_f16_e32 v74, v87, v93
	v_sub_f16_e32 v75, v89, v87
	v_sub_f16_e32 v76, v91, v93
	v_add_f16_e32 v82, v26, v3
	v_add_f16_e32 v84, v27, v28
	v_add_f16_e32 v92, v3, v29
	v_add_f16_e32 v96, v5, v95
	v_sub_f16_e32 v103, v95, v97
	v_sub_f16_e32 v104, v101, v99
	v_add_f16_e32 v108, v19, v30
	v_add_f16_e32 v109, v31, v32
	v_add_f16_e32 v113, v30, v33
	v_add_f16_e32 v68, v4, v87
	v_sub_f16_e32 v70, v3, v29
	v_sub_f16_e32 v71, v27, v28
	v_sub_f16_e32 v86, v87, v93
	v_sub_f16_e32 v87, v89, v91
	v_sub_f16_e32 v88, v3, v27
	v_sub_f16_e32 v90, v29, v28
	v_sub_f16_e32 v3, v27, v3
	v_sub_f16_e32 v94, v28, v29
	v_add_f16_e32 v98, v97, v99
	v_sub_f16_e32 v100, v30, v33
	v_sub_f16_e32 v102, v31, v32
	v_add_f16_e32 v105, v95, v101
	v_sub_f16_e32 v106, v97, v95
	v_sub_f16_e32 v107, v99, v101
	;; [unrolled: 1-line block ×5, first 2 shown]
	v_fmac_f16_e32 v47, v60, v39
	v_fma_f16 v39, v77, v39, -v49
	v_fmac_f16_e32 v50, v57, v40
	v_fma_f16 v40, v78, v40, -v53
	;; [unrolled: 2-line block ×4, first 2 shown]
	v_mul_f16_sdwa v49, v81, v43 dst_sel:DWORD dst_unused:UNUSED_PAD src0_sel:DWORD src1_sel:WORD_1
	v_mul_f16_sdwa v53, v61, v43 dst_sel:DWORD dst_unused:UNUSED_PAD src0_sel:DWORD src1_sel:WORD_1
	;; [unrolled: 1-line block ×5, first 2 shown]
	v_fma_f16 v69, -0.5, v69, v4
	v_add_f16_e32 v72, v72, v73
	v_fma_f16 v4, -0.5, v74, v4
	v_add_f16_e32 v73, v75, v76
	v_add_f16_e32 v27, v82, v27
	v_fma_f16 v74, -0.5, v84, v26
	v_fmac_f16_e32 v26, -0.5, v92
	v_add_f16_e32 v76, v96, v97
	v_add_f16_e32 v78, v103, v104
	;; [unrolled: 1-line block ×3, first 2 shown]
	v_fma_f16 v80, -0.5, v109, v19
	v_fmac_f16_e32 v19, -0.5, v113
	v_add_f16_e32 v84, v0, v34
	v_add_f16_e32 v103, v23, v35
	;; [unrolled: 1-line block ×4, first 2 shown]
	v_sub_f16_e32 v95, v95, v101
	v_sub_f16_e32 v114, v32, v33
	v_mul_f16_sdwa v56, v83, v44 dst_sel:DWORD dst_unused:UNUSED_PAD src0_sel:DWORD src1_sel:WORD_1
	v_mul_f16_sdwa v57, v64, v44 dst_sel:DWORD dst_unused:UNUSED_PAD src0_sel:DWORD src1_sel:WORD_1
	;; [unrolled: 1-line block ×3, first 2 shown]
	v_add_f16_e32 v68, v68, v89
	v_add_f16_e32 v75, v88, v90
	;; [unrolled: 1-line block ×3, first 2 shown]
	v_fma_f16 v77, -0.5, v98, v5
	v_fmac_f16_e32 v5, -0.5, v105
	v_add_f16_e32 v79, v106, v107
	v_add_f16_e32 v88, v48, v52
	v_sub_f16_e32 v89, v35, v38
	v_sub_f16_e32 v90, v36, v37
	;; [unrolled: 1-line block ×4, first 2 shown]
	v_add_f16_e32 v96, v34, v54
	v_sub_f16_e32 v97, v48, v34
	v_sub_f16_e32 v98, v52, v54
	;; [unrolled: 1-line block ×5, first 2 shown]
	v_fmac_f16_e32 v49, v61, v43
	v_fma_f16 v43, v81, v43, -v53
	v_fmac_f16_e32 v59, v63, v45
	v_fma_f16 v45, v85, v45, -v60
	v_fmac_f16_e32 v62, v66, v46
	v_fmamk_f16 v60, v71, 0x3b9c, v4
	v_fmac_f16_e32 v4, 0xbb9c, v71
	v_add_f16_e32 v27, v27, v28
	v_fmamk_f16 v61, v87, 0xbb9c, v26
	v_fmac_f16_e32 v26, 0x3b9c, v87
	v_add_f16_e32 v63, v76, v99
	v_add_f16_e32 v31, v31, v32
	v_fmamk_f16 v66, v110, 0xbb9c, v19
	v_fmac_f16_e32 v19, 0x3b9c, v110
	v_add_f16_e32 v48, v84, v48
	v_add_f16_e32 v36, v103, v36
	v_fma_f16 v81, -0.5, v104, v23
	v_fmac_f16_e32 v23, -0.5, v108
	v_add_f16_e32 v84, v1, v47
	v_add_f16_e32 v85, v50, v55
	;; [unrolled: 1-line block ×4, first 2 shown]
	v_sub_f16_e32 v112, v33, v32
	v_add_f16_e32 v30, v30, v114
	v_sub_f16_e32 v34, v34, v54
	v_sub_f16_e32 v107, v38, v37
	v_sub_f16_e32 v109, v37, v38
	v_fmac_f16_e32 v56, v64, v44
	v_fma_f16 v44, v83, v44, -v57
	v_fma_f16 v46, v67, v46, -v65
	v_add_f16_e32 v53, v68, v91
	v_fmamk_f16 v57, v70, 0xbb9c, v69
	v_fmac_f16_e32 v69, 0x3b9c, v70
	v_fmamk_f16 v28, v86, 0x3b9c, v74
	v_fmac_f16_e32 v74, 0xbb9c, v86
	v_fma_f16 v67, -0.5, v88, v0
	v_add_f16_e32 v68, v92, v94
	v_fma_f16 v0, -0.5, v96, v0
	v_add_f16_e32 v76, v97, v98
	v_sub_f16_e32 v92, v47, v50
	v_add_f16_e32 v96, v47, v58
	v_sub_f16_e32 v97, v50, v47
	v_sub_f16_e32 v47, v47, v58
	;; [unrolled: 1-line block ×3, first 2 shown]
	v_add_f16_e32 v108, v39, v42
	v_fmac_f16_e32 v60, 0xb8b4, v70
	v_fmac_f16_e32 v4, 0x38b4, v70
	v_add_f16_e32 v27, v27, v29
	v_fmac_f16_e32 v61, 0x38b4, v86
	v_fmac_f16_e32 v26, 0xb8b4, v86
	v_add_f16_e32 v29, v63, v101
	v_add_f16_e32 v31, v31, v33
	v_fmac_f16_e32 v66, 0x38b4, v95
	v_fmac_f16_e32 v19, 0xb8b4, v95
	v_add_f16_e32 v33, v48, v52
	v_add_f16_e32 v36, v36, v37
	v_fmamk_f16 v63, v105, 0xbb9c, v23
	v_fmac_f16_e32 v23, 0x3b9c, v105
	v_add_f16_e32 v50, v84, v50
	v_fma_f16 v70, -0.5, v85, v1
	v_add_f16_e32 v85, v99, v40
	v_fma_f16 v86, -0.5, v103, v18
	v_add_f16_e32 v83, v106, v107
	v_add_f16_e32 v35, v35, v109
	v_sub_f16_e32 v88, v39, v42
	v_sub_f16_e32 v91, v40, v41
	;; [unrolled: 1-line block ×4, first 2 shown]
	v_fmamk_f16 v48, v89, 0xbb9c, v67
	v_fmac_f16_e32 v67, 0x3b9c, v89
	v_fmac_f16_e32 v18, -0.5, v108
	v_fmac_f16_e32 v61, 0x34f2, v3
	v_fmac_f16_e32 v26, 0x34f2, v3
	;; [unrolled: 1-line block ×4, first 2 shown]
	v_add_f16_e32 v3, v33, v54
	v_add_f16_e32 v30, v36, v38
	v_fmac_f16_e32 v63, 0x38b4, v34
	v_fmac_f16_e32 v23, 0xb8b4, v34
	v_add_f16_e32 v33, v50, v55
	v_add_f16_e32 v38, v85, v41
	v_fmamk_f16 v50, v47, 0x3b9c, v86
	v_fmac_f16_e32 v86, 0xbb9c, v47
	v_sub_f16_e32 v39, v40, v39
	v_sub_f16_e32 v40, v41, v42
	v_add_f16_e32 v41, v56, v59
	v_fmac_f16_e32 v48, 0xb8b4, v90
	v_fmac_f16_e32 v67, 0x38b4, v90
	;; [unrolled: 1-line block ×4, first 2 shown]
	v_add_f16_e32 v35, v38, v42
	v_fmac_f16_e32 v50, 0x38b4, v104
	v_add_f16_e32 v38, v106, v107
	v_fmamk_f16 v54, v104, 0xbb9c, v18
	v_fmac_f16_e32 v86, 0xb8b4, v104
	v_add_f16_e32 v39, v39, v40
	v_fmac_f16_e32 v18, 0x3b9c, v104
	v_add_f16_e32 v40, v2, v49
	v_fma_f16 v41, -0.5, v41, v2
	v_sub_f16_e32 v42, v43, v46
	v_sub_f16_e32 v94, v58, v55
	;; [unrolled: 1-line block ×3, first 2 shown]
	v_fmac_f16_e32 v48, 0x34f2, v68
	v_fmac_f16_e32 v67, 0x34f2, v68
	v_add_f16_e32 v33, v33, v58
	v_fmac_f16_e32 v50, 0x34f2, v38
	v_fmac_f16_e32 v54, 0x38b4, v47
	;; [unrolled: 1-line block ×4, first 2 shown]
	v_add_f16_e32 v38, v40, v56
	v_fmamk_f16 v40, v42, 0xbb9c, v41
	v_sub_f16_e32 v47, v44, v45
	v_sub_f16_e32 v55, v49, v56
	;; [unrolled: 1-line block ×3, first 2 shown]
	v_fmac_f16_e32 v41, 0x3b9c, v42
	v_add_f16_e32 v68, v49, v62
	v_add_f16_e32 v38, v38, v59
	v_fmac_f16_e32 v40, 0xb8b4, v47
	v_add_f16_e32 v55, v55, v58
	v_fmac_f16_e32 v41, 0x38b4, v47
	v_fmac_f16_e32 v2, -0.5, v68
	v_fmamk_f16 v65, v102, 0x3b9c, v5
	v_fmac_f16_e32 v54, 0x34f2, v39
	v_fmac_f16_e32 v18, 0x34f2, v39
	v_add_f16_e32 v38, v38, v62
	v_fmac_f16_e32 v40, 0x34f2, v55
	v_fmac_f16_e32 v41, 0x34f2, v55
	v_fmamk_f16 v39, v47, 0x3b9c, v2
	v_add_f16_e32 v55, v44, v45
	v_sub_f16_e32 v58, v56, v49
	v_sub_f16_e32 v68, v59, v62
	v_fmac_f16_e32 v2, 0xbb9c, v47
	v_sub_f16_e32 v49, v49, v62
	v_add_f16_e32 v62, v43, v46
	v_fmamk_f16 v64, v100, 0xbb9c, v77
	v_fmac_f16_e32 v5, 0xbb9c, v102
	v_fmamk_f16 v32, v95, 0x3b9c, v80
	v_fmac_f16_e32 v65, 0xb8b4, v100
	;; [unrolled: 2-line block ×3, first 2 shown]
	v_fmamk_f16 v37, v34, 0x3b9c, v81
	v_fmac_f16_e32 v1, -0.5, v96
	v_fmac_f16_e32 v77, 0x3b9c, v100
	v_fmac_f16_e32 v80, 0xbb9c, v95
	v_add_f16_e32 v47, v17, v43
	v_fma_f16 v55, -0.5, v55, v17
	v_fmac_f16_e32 v39, 0xb8b4, v42
	v_add_f16_e32 v58, v58, v68
	v_fmac_f16_e32 v2, 0x38b4, v42
	v_sub_f16_e32 v56, v56, v59
	v_fmac_f16_e32 v17, -0.5, v62
	v_add_f16_e32 v82, v111, v112
	v_add_f16_e32 v53, v53, v93
	v_fmac_f16_e32 v64, 0xb8b4, v102
	v_fmac_f16_e32 v5, 0x38b4, v100
	;; [unrolled: 1-line block ×8, first 2 shown]
	v_fmamk_f16 v36, v91, 0x3b9c, v1
	v_fmac_f16_e32 v69, 0x38b4, v71
	v_fmac_f16_e32 v74, 0xb8b4, v87
	;; [unrolled: 1-line block ×5, first 2 shown]
	v_fmamk_f16 v34, v88, 0xbb9c, v70
	v_fmac_f16_e32 v70, 0x3b9c, v88
	v_add_f16_e32 v42, v47, v44
	v_fmac_f16_e32 v39, 0x34f2, v58
	v_fmac_f16_e32 v2, 0x34f2, v58
	v_sub_f16_e32 v58, v43, v44
	v_fmamk_f16 v62, v56, 0xbb9c, v17
	v_sub_f16_e32 v43, v44, v43
	v_sub_f16_e32 v44, v45, v46
	v_fmac_f16_e32 v17, 0x3b9c, v56
	v_add_f16_e32 v84, v97, v98
	v_fmac_f16_e32 v64, 0x34f2, v78
	v_fmac_f16_e32 v5, 0x34f2, v79
	;; [unrolled: 1-line block ×8, first 2 shown]
	v_pack_b32_f16 v27, v53, v27
	v_pack_b32_f16 v29, v29, v31
	;; [unrolled: 1-line block ×5, first 2 shown]
	v_fmac_f16_e32 v57, 0xb8b4, v71
	v_add_f16_e32 v71, v92, v94
	v_fmac_f16_e32 v69, 0x34f2, v72
	v_fmac_f16_e32 v74, 0x34f2, v75
	;; [unrolled: 1-line block ×6, first 2 shown]
	v_fmamk_f16 v47, v49, 0x3b9c, v55
	v_sub_f16_e32 v59, v46, v45
	v_fmac_f16_e32 v62, 0x38b4, v49
	v_add_f16_e32 v43, v43, v44
	v_fmac_f16_e32 v17, 0xb8b4, v49
	v_fmac_f16_e32 v55, 0xbb9c, v49
	;; [unrolled: 1-line block ×6, first 2 shown]
	v_add_f16_e32 v42, v42, v45
	ds_write2_b32 v51, v27, v29 offset1:90
	v_pack_b32_f16 v29, v64, v32
	ds_write2_b32 v16, v31, v26 offset0:132 offset1:222
	v_pack_b32_f16 v16, v48, v37
	v_pack_b32_f16 v5, v5, v19
	;; [unrolled: 1-line block ×3, first 2 shown]
	v_fmac_f16_e32 v81, 0x34f2, v83
	v_fmac_f16_e32 v34, 0xb8b4, v91
	;; [unrolled: 1-line block ×4, first 2 shown]
	v_add_f16_e32 v45, v58, v59
	v_fmac_f16_e32 v62, 0x34f2, v43
	v_fmac_f16_e32 v17, 0x34f2, v43
	v_pack_b32_f16 v43, v69, v74
	v_pack_b32_f16 v27, v77, v80
	v_fmac_f16_e32 v55, 0xb8b4, v56
	v_fmac_f16_e32 v57, 0x34f2, v72
	;; [unrolled: 1-line block ×4, first 2 shown]
	v_add_f16_e32 v42, v42, v46
	ds_write2_b32 v14, v29, v16 offset0:28 offset1:118
	v_pack_b32_f16 v14, v52, v63
	ds_write2_b32 v13, v5, v0 offset0:160 offset1:250
	v_pack_b32_f16 v0, v36, v54
	v_fmac_f16_e32 v34, 0x34f2, v71
	v_fmac_f16_e32 v47, 0x34f2, v45
	ds_write2_b32 v15, v43, v27 offset0:8 offset1:98
	v_pack_b32_f16 v3, v3, v30
	v_pack_b32_f16 v15, v33, v35
	;; [unrolled: 1-line block ×4, first 2 shown]
	v_fmac_f16_e32 v55, 0x34f2, v45
	v_pack_b32_f16 v28, v57, v28
	ds_write2_b32 v10, v14, v0 offset0:56 offset1:146
	v_pack_b32_f16 v0, v1, v18
	v_pack_b32_f16 v1, v38, v42
	ds_write2_b32 v11, v3, v15 offset0:52 offset1:142
	v_pack_b32_f16 v3, v34, v50
	ds_write2_b32 v12, v5, v13 offset0:60 offset1:150
	v_pack_b32_f16 v5, v40, v47
	v_pack_b32_f16 v10, v39, v62
	;; [unrolled: 1-line block ×4, first 2 shown]
	ds_write2_b32 v6, v1, v28 offset0:104 offset1:194
	ds_write2_b32 v7, v3, v5 offset0:80 offset1:170
	;; [unrolled: 1-line block ×4, first 2 shown]
	ds_write_b32 v51, v11 offset:8640
	s_waitcnt lgkmcnt(0)
	s_barrier
	buffer_gl0_inv
	s_and_saveexec_b32 s0, vcc_lo
	s_cbranch_execz .LBB0_33
; %bb.32:
	v_mul_lo_u32 v2, s3, v24
	v_mul_lo_u32 v3, s2, v25
	v_mad_u64_u32 v[0:1], null, s2, v24, 0
	v_lshl_add_u32 v16, v22, 2, 0
	v_mov_b32_e32 v23, 0
	v_add_nc_u32_e32 v4, 0x5a, v22
	v_add_nc_u32_e32 v6, 0xb4, v22
	;; [unrolled: 1-line block ×3, first 2 shown]
	v_add3_u32 v1, v1, v3, v2
	v_lshlrev_b64 v[2:3], 2, v[20:21]
	ds_read2_b32 v[8:9], v16 offset1:90
	v_mov_b32_e32 v5, v23
	v_lshlrev_b64 v[10:11], 2, v[22:23]
	v_lshlrev_b64 v[0:1], 2, v[0:1]
	v_mov_b32_e32 v7, v23
	v_mov_b32_e32 v15, v23
	v_lshlrev_b64 v[6:7], 2, v[6:7]
	v_add_co_u32 v13, vcc_lo, s10, v0
	v_add_co_ci_u32_e32 v14, vcc_lo, s11, v1, vcc_lo
	ds_read2_b32 v[0:1], v12 offset0:52 offset1:142
	v_add_co_u32 v17, vcc_lo, v13, v2
	v_add_co_ci_u32_e32 v18, vcc_lo, v14, v3, vcc_lo
	v_lshlrev_b64 v[2:3], 2, v[4:5]
	v_add_co_u32 v4, vcc_lo, v17, v10
	v_add_co_ci_u32_e32 v5, vcc_lo, v18, v11, vcc_lo
	v_add_nc_u32_e32 v10, 0x10e, v22
	v_add_co_u32 v2, vcc_lo, v17, v2
	v_add_co_ci_u32_e32 v3, vcc_lo, v18, v3, vcc_lo
	v_add_co_u32 v6, vcc_lo, v17, v6
	v_add_co_ci_u32_e32 v7, vcc_lo, v18, v7, vcc_lo
	v_mov_b32_e32 v11, v23
	s_waitcnt lgkmcnt(1)
	global_store_dword v[4:5], v8, off
	global_store_dword v[2:3], v9, off
	s_waitcnt lgkmcnt(0)
	global_store_dword v[6:7], v0, off
	v_add_nc_u32_e32 v0, 0x400, v16
	v_add_nc_u32_e32 v4, 0x168, v22
	v_mov_b32_e32 v5, v23
	v_lshlrev_b64 v[2:3], 2, v[10:11]
	v_add_nc_u32_e32 v11, 0x800, v16
	ds_read2_b32 v[8:9], v0 offset0:104 offset1:194
	v_add_nc_u32_e32 v6, 0x1c2, v22
	v_mov_b32_e32 v7, v23
	v_lshlrev_b64 v[4:5], 2, v[4:5]
	ds_read2_b32 v[12:13], v11 offset0:28 offset1:118
	v_add_nc_u32_e32 v10, 0x21c, v22
	v_mov_b32_e32 v11, v23
	v_add_co_u32 v2, vcc_lo, v17, v2
	v_lshlrev_b64 v[6:7], 2, v[6:7]
	v_add_co_ci_u32_e32 v3, vcc_lo, v18, v3, vcc_lo
	v_add_co_u32 v4, vcc_lo, v17, v4
	v_lshlrev_b64 v[10:11], 2, v[10:11]
	v_add_co_ci_u32_e32 v5, vcc_lo, v18, v5, vcc_lo
	v_add_co_u32 v6, vcc_lo, v17, v6
	v_add_co_ci_u32_e32 v7, vcc_lo, v18, v7, vcc_lo
	v_add_co_u32 v10, vcc_lo, v17, v10
	v_add_co_ci_u32_e32 v11, vcc_lo, v18, v11, vcc_lo
	v_add_nc_u32_e32 v14, 0x276, v22
	global_store_dword v[2:3], v1, off
	s_waitcnt lgkmcnt(1)
	global_store_dword v[4:5], v8, off
	global_store_dword v[6:7], v9, off
	s_waitcnt lgkmcnt(0)
	global_store_dword v[10:11], v12, off
	v_add_nc_u32_e32 v6, 0xa00, v16
	v_add_nc_u32_e32 v10, 0xc00, v16
	v_add_nc_u32_e32 v2, 0x2d0, v22
	v_mov_b32_e32 v3, v23
	v_lshlrev_b64 v[0:1], 2, v[14:15]
	ds_read2_b32 v[6:7], v6 offset0:80 offset1:170
	v_add_nc_u32_e32 v4, 0x32a, v22
	v_mov_b32_e32 v5, v23
	ds_read2_b32 v[10:11], v10 offset0:132 offset1:222
	v_lshlrev_b64 v[2:3], 2, v[2:3]
	v_add_nc_u32_e32 v8, 0x384, v22
	v_mov_b32_e32 v9, v23
	v_add_co_u32 v0, vcc_lo, v17, v0
	v_lshlrev_b64 v[4:5], 2, v[4:5]
	v_add_co_ci_u32_e32 v1, vcc_lo, v18, v1, vcc_lo
	v_add_nc_u32_e32 v14, 0x3de, v22
	v_add_co_u32 v2, vcc_lo, v17, v2
	v_lshlrev_b64 v[8:9], 2, v[8:9]
	v_add_co_ci_u32_e32 v3, vcc_lo, v18, v3, vcc_lo
	v_add_co_u32 v4, vcc_lo, v17, v4
	v_lshlrev_b64 v[14:15], 2, v[14:15]
	v_add_co_ci_u32_e32 v5, vcc_lo, v18, v5, vcc_lo
	v_add_co_u32 v8, vcc_lo, v17, v8
	v_add_co_ci_u32_e32 v9, vcc_lo, v18, v9, vcc_lo
	global_store_dword v[0:1], v13, off
	s_waitcnt lgkmcnt(1)
	global_store_dword v[2:3], v6, off
	global_store_dword v[4:5], v7, off
	s_waitcnt lgkmcnt(0)
	global_store_dword v[8:9], v10, off
	v_add_co_u32 v0, vcc_lo, v17, v14
	v_add_co_ci_u32_e32 v1, vcc_lo, v18, v15, vcc_lo
	v_add_nc_u32_e32 v6, 0x1000, v16
	v_add_nc_u32_e32 v8, 0x1200, v16
	;; [unrolled: 1-line block ×3, first 2 shown]
	v_mov_b32_e32 v3, v23
	global_store_dword v[0:1], v11, off
	ds_read2_b32 v[0:1], v6 offset0:56 offset1:146
	v_add_nc_u32_e32 v4, 0x492, v22
	v_mov_b32_e32 v5, v23
	ds_read2_b32 v[8:9], v8 offset0:108 offset1:198
	v_lshlrev_b64 v[2:3], 2, v[2:3]
	v_add_nc_u32_e32 v6, 0x4ec, v22
	v_mov_b32_e32 v7, v23
	v_lshlrev_b64 v[4:5], 2, v[4:5]
	v_add_nc_u32_e32 v14, 0x1400, v16
	v_add_nc_u32_e32 v10, 0x546, v22
	v_add_co_u32 v2, vcc_lo, v17, v2
	v_lshlrev_b64 v[6:7], 2, v[6:7]
	v_add_co_ci_u32_e32 v3, vcc_lo, v18, v3, vcc_lo
	v_add_co_u32 v4, vcc_lo, v17, v4
	v_mov_b32_e32 v11, v23
	ds_read2_b32 v[14:15], v14 offset0:160 offset1:250
	v_add_co_ci_u32_e32 v5, vcc_lo, v18, v5, vcc_lo
	v_add_co_u32 v6, vcc_lo, v17, v6
	v_add_nc_u32_e32 v12, 0x5a0, v22
	v_mov_b32_e32 v13, v23
	v_add_co_ci_u32_e32 v7, vcc_lo, v18, v7, vcc_lo
	v_lshlrev_b64 v[10:11], 2, v[10:11]
	s_waitcnt lgkmcnt(2)
	global_store_dword v[2:3], v0, off
	global_store_dword v[4:5], v1, off
	s_waitcnt lgkmcnt(1)
	global_store_dword v[6:7], v8, off
	v_lshlrev_b64 v[0:1], 2, v[12:13]
	v_add_nc_u32_e32 v8, 0x1800, v16
	v_add_nc_u32_e32 v4, 0x5fa, v22
	v_mov_b32_e32 v5, v23
	v_add_co_u32 v2, vcc_lo, v17, v10
	v_add_co_ci_u32_e32 v3, vcc_lo, v18, v11, vcc_lo
	v_add_co_u32 v0, vcc_lo, v17, v0
	v_add_co_ci_u32_e32 v1, vcc_lo, v18, v1, vcc_lo
	v_add_nc_u32_e32 v6, 0x654, v22
	v_mov_b32_e32 v7, v23
	global_store_dword v[2:3], v9, off
	s_waitcnt lgkmcnt(0)
	global_store_dword v[0:1], v14, off
	ds_read2_b32 v[2:3], v8 offset0:84 offset1:174
	v_lshlrev_b64 v[0:1], 2, v[4:5]
	v_add_nc_u32_e32 v8, 0x708, v22
	v_lshlrev_b64 v[4:5], 2, v[6:7]
	v_add_nc_u32_e32 v6, 0x6ae, v22
	v_mov_b32_e32 v9, v23
	v_add_nc_u32_e32 v10, 0x1c00, v16
	v_add_co_u32 v0, vcc_lo, v17, v0
	v_lshlrev_b64 v[6:7], 2, v[6:7]
	v_add_co_ci_u32_e32 v1, vcc_lo, v18, v1, vcc_lo
	v_add_co_u32 v4, vcc_lo, v17, v4
	v_add_co_ci_u32_e32 v5, vcc_lo, v18, v5, vcc_lo
	v_add_co_u32 v6, vcc_lo, v17, v6
	v_add_co_ci_u32_e32 v7, vcc_lo, v18, v7, vcc_lo
	global_store_dword v[0:1], v15, off
	s_waitcnt lgkmcnt(0)
	global_store_dword v[4:5], v2, off
	global_store_dword v[6:7], v3, off
	v_lshlrev_b64 v[2:3], 2, v[8:9]
	v_add_nc_u32_e32 v4, 0x762, v22
	v_mov_b32_e32 v5, v23
	v_add_nc_u32_e32 v8, 0x1e00, v16
	ds_read2_b32 v[0:1], v10 offset0:8 offset1:98
	v_add_nc_u32_e32 v6, 0x7bc, v22
	v_mov_b32_e32 v7, v23
	v_lshlrev_b64 v[4:5], 2, v[4:5]
	ds_read2_b32 v[8:9], v8 offset0:60 offset1:150
	v_add_nc_u32_e32 v10, 0x816, v22
	v_mov_b32_e32 v11, v23
	ds_read_b32 v14, v16 offset:8640
	v_add_co_u32 v2, vcc_lo, v17, v2
	v_lshlrev_b64 v[6:7], 2, v[6:7]
	v_add_nc_u32_e32 v22, 0x870, v22
	v_add_co_ci_u32_e32 v3, vcc_lo, v18, v3, vcc_lo
	v_add_co_u32 v4, vcc_lo, v17, v4
	v_lshlrev_b64 v[10:11], 2, v[10:11]
	v_add_co_ci_u32_e32 v5, vcc_lo, v18, v5, vcc_lo
	v_add_co_u32 v6, vcc_lo, v17, v6
	v_lshlrev_b64 v[12:13], 2, v[22:23]
	v_add_co_ci_u32_e32 v7, vcc_lo, v18, v7, vcc_lo
	v_add_co_u32 v10, vcc_lo, v17, v10
	v_add_co_ci_u32_e32 v11, vcc_lo, v18, v11, vcc_lo
	v_add_co_u32 v12, vcc_lo, v17, v12
	v_add_co_ci_u32_e32 v13, vcc_lo, v18, v13, vcc_lo
	s_waitcnt lgkmcnt(2)
	global_store_dword v[2:3], v0, off
	global_store_dword v[4:5], v1, off
	s_waitcnt lgkmcnt(1)
	global_store_dword v[6:7], v8, off
	global_store_dword v[10:11], v9, off
	s_waitcnt lgkmcnt(0)
	global_store_dword v[12:13], v14, off
.LBB0_33:
	s_endpgm
	.section	.rodata,"a",@progbits
	.p2align	6, 0x0
	.amdhsa_kernel fft_rtc_back_len2250_factors_10_3_5_3_5_wgs_90_tpt_90_halfLds_half_op_CI_CI_unitstride_sbrr_C2R_dirReg
		.amdhsa_group_segment_fixed_size 0
		.amdhsa_private_segment_fixed_size 0
		.amdhsa_kernarg_size 104
		.amdhsa_user_sgpr_count 6
		.amdhsa_user_sgpr_private_segment_buffer 1
		.amdhsa_user_sgpr_dispatch_ptr 0
		.amdhsa_user_sgpr_queue_ptr 0
		.amdhsa_user_sgpr_kernarg_segment_ptr 1
		.amdhsa_user_sgpr_dispatch_id 0
		.amdhsa_user_sgpr_flat_scratch_init 0
		.amdhsa_user_sgpr_private_segment_size 0
		.amdhsa_wavefront_size32 1
		.amdhsa_uses_dynamic_stack 0
		.amdhsa_system_sgpr_private_segment_wavefront_offset 0
		.amdhsa_system_sgpr_workgroup_id_x 1
		.amdhsa_system_sgpr_workgroup_id_y 0
		.amdhsa_system_sgpr_workgroup_id_z 0
		.amdhsa_system_sgpr_workgroup_info 0
		.amdhsa_system_vgpr_workitem_id 0
		.amdhsa_next_free_vgpr 134
		.amdhsa_next_free_sgpr 27
		.amdhsa_reserve_vcc 1
		.amdhsa_reserve_flat_scratch 0
		.amdhsa_float_round_mode_32 0
		.amdhsa_float_round_mode_16_64 0
		.amdhsa_float_denorm_mode_32 3
		.amdhsa_float_denorm_mode_16_64 3
		.amdhsa_dx10_clamp 1
		.amdhsa_ieee_mode 1
		.amdhsa_fp16_overflow 0
		.amdhsa_workgroup_processor_mode 1
		.amdhsa_memory_ordered 1
		.amdhsa_forward_progress 0
		.amdhsa_shared_vgpr_count 0
		.amdhsa_exception_fp_ieee_invalid_op 0
		.amdhsa_exception_fp_denorm_src 0
		.amdhsa_exception_fp_ieee_div_zero 0
		.amdhsa_exception_fp_ieee_overflow 0
		.amdhsa_exception_fp_ieee_underflow 0
		.amdhsa_exception_fp_ieee_inexact 0
		.amdhsa_exception_int_div_zero 0
	.end_amdhsa_kernel
	.text
.Lfunc_end0:
	.size	fft_rtc_back_len2250_factors_10_3_5_3_5_wgs_90_tpt_90_halfLds_half_op_CI_CI_unitstride_sbrr_C2R_dirReg, .Lfunc_end0-fft_rtc_back_len2250_factors_10_3_5_3_5_wgs_90_tpt_90_halfLds_half_op_CI_CI_unitstride_sbrr_C2R_dirReg
                                        ; -- End function
	.section	.AMDGPU.csdata,"",@progbits
; Kernel info:
; codeLenInByte = 20400
; NumSgprs: 29
; NumVgprs: 134
; ScratchSize: 0
; MemoryBound: 0
; FloatMode: 240
; IeeeMode: 1
; LDSByteSize: 0 bytes/workgroup (compile time only)
; SGPRBlocks: 3
; VGPRBlocks: 16
; NumSGPRsForWavesPerEU: 29
; NumVGPRsForWavesPerEU: 134
; Occupancy: 7
; WaveLimiterHint : 1
; COMPUTE_PGM_RSRC2:SCRATCH_EN: 0
; COMPUTE_PGM_RSRC2:USER_SGPR: 6
; COMPUTE_PGM_RSRC2:TRAP_HANDLER: 0
; COMPUTE_PGM_RSRC2:TGID_X_EN: 1
; COMPUTE_PGM_RSRC2:TGID_Y_EN: 0
; COMPUTE_PGM_RSRC2:TGID_Z_EN: 0
; COMPUTE_PGM_RSRC2:TIDIG_COMP_CNT: 0
	.text
	.p2alignl 6, 3214868480
	.fill 48, 4, 3214868480
	.type	__hip_cuid_ec55101b7de728eb,@object ; @__hip_cuid_ec55101b7de728eb
	.section	.bss,"aw",@nobits
	.globl	__hip_cuid_ec55101b7de728eb
__hip_cuid_ec55101b7de728eb:
	.byte	0                               ; 0x0
	.size	__hip_cuid_ec55101b7de728eb, 1

	.ident	"AMD clang version 19.0.0git (https://github.com/RadeonOpenCompute/llvm-project roc-6.4.0 25133 c7fe45cf4b819c5991fe208aaa96edf142730f1d)"
	.section	".note.GNU-stack","",@progbits
	.addrsig
	.addrsig_sym __hip_cuid_ec55101b7de728eb
	.amdgpu_metadata
---
amdhsa.kernels:
  - .args:
      - .actual_access:  read_only
        .address_space:  global
        .offset:         0
        .size:           8
        .value_kind:     global_buffer
      - .offset:         8
        .size:           8
        .value_kind:     by_value
      - .actual_access:  read_only
        .address_space:  global
        .offset:         16
        .size:           8
        .value_kind:     global_buffer
      - .actual_access:  read_only
        .address_space:  global
        .offset:         24
        .size:           8
        .value_kind:     global_buffer
      - .actual_access:  read_only
        .address_space:  global
        .offset:         32
        .size:           8
        .value_kind:     global_buffer
      - .offset:         40
        .size:           8
        .value_kind:     by_value
      - .actual_access:  read_only
        .address_space:  global
        .offset:         48
        .size:           8
        .value_kind:     global_buffer
      - .actual_access:  read_only
        .address_space:  global
        .offset:         56
        .size:           8
        .value_kind:     global_buffer
      - .offset:         64
        .size:           4
        .value_kind:     by_value
      - .actual_access:  read_only
        .address_space:  global
        .offset:         72
        .size:           8
        .value_kind:     global_buffer
      - .actual_access:  read_only
        .address_space:  global
        .offset:         80
        .size:           8
        .value_kind:     global_buffer
      - .actual_access:  read_only
        .address_space:  global
        .offset:         88
        .size:           8
        .value_kind:     global_buffer
      - .actual_access:  write_only
        .address_space:  global
        .offset:         96
        .size:           8
        .value_kind:     global_buffer
    .group_segment_fixed_size: 0
    .kernarg_segment_align: 8
    .kernarg_segment_size: 104
    .language:       OpenCL C
    .language_version:
      - 2
      - 0
    .max_flat_workgroup_size: 90
    .name:           fft_rtc_back_len2250_factors_10_3_5_3_5_wgs_90_tpt_90_halfLds_half_op_CI_CI_unitstride_sbrr_C2R_dirReg
    .private_segment_fixed_size: 0
    .sgpr_count:     29
    .sgpr_spill_count: 0
    .symbol:         fft_rtc_back_len2250_factors_10_3_5_3_5_wgs_90_tpt_90_halfLds_half_op_CI_CI_unitstride_sbrr_C2R_dirReg.kd
    .uniform_work_group_size: 1
    .uses_dynamic_stack: false
    .vgpr_count:     134
    .vgpr_spill_count: 0
    .wavefront_size: 32
    .workgroup_processor_mode: 1
amdhsa.target:   amdgcn-amd-amdhsa--gfx1030
amdhsa.version:
  - 1
  - 2
...

	.end_amdgpu_metadata
